;; amdgpu-corpus repo=ROCm/rocFFT kind=compiled arch=gfx1100 opt=O3
	.text
	.amdgcn_target "amdgcn-amd-amdhsa--gfx1100"
	.amdhsa_code_object_version 6
	.protected	fft_rtc_fwd_len3600_factors_10_10_6_6_wgs_120_tpt_120_halfLds_half_ip_CI_unitstride_sbrr_R2C_dirReg ; -- Begin function fft_rtc_fwd_len3600_factors_10_10_6_6_wgs_120_tpt_120_halfLds_half_ip_CI_unitstride_sbrr_R2C_dirReg
	.globl	fft_rtc_fwd_len3600_factors_10_10_6_6_wgs_120_tpt_120_halfLds_half_ip_CI_unitstride_sbrr_R2C_dirReg
	.p2align	8
	.type	fft_rtc_fwd_len3600_factors_10_10_6_6_wgs_120_tpt_120_halfLds_half_ip_CI_unitstride_sbrr_R2C_dirReg,@function
fft_rtc_fwd_len3600_factors_10_10_6_6_wgs_120_tpt_120_halfLds_half_ip_CI_unitstride_sbrr_R2C_dirReg: ; @fft_rtc_fwd_len3600_factors_10_10_6_6_wgs_120_tpt_120_halfLds_half_ip_CI_unitstride_sbrr_R2C_dirReg
; %bb.0:
	s_clause 0x2
	s_load_b128 s[4:7], s[0:1], 0x0
	s_load_b64 s[8:9], s[0:1], 0x50
	s_load_b64 s[10:11], s[0:1], 0x18
	v_mul_u32_u24_e32 v1, 0x223, v0
	v_mov_b32_e32 v3, 0
	v_mov_b32_e32 v4, 0
	s_delay_alu instid0(VALU_DEP_3) | instskip(SKIP_1) | instid1(VALU_DEP_1)
	v_lshrrev_b32_e32 v2, 16, v1
	v_mov_b32_e32 v1, 0
	v_dual_mov_b32 v6, v1 :: v_dual_add_nc_u32 v5, s15, v2
	s_waitcnt lgkmcnt(0)
	v_cmp_lt_u64_e64 s2, s[6:7], 2
	s_delay_alu instid0(VALU_DEP_1)
	s_and_b32 vcc_lo, exec_lo, s2
	s_cbranch_vccnz .LBB0_8
; %bb.1:
	s_load_b64 s[2:3], s[0:1], 0x10
	v_mov_b32_e32 v3, 0
	s_add_u32 s12, s10, 8
	v_mov_b32_e32 v4, 0
	s_addc_u32 s13, s11, 0
	s_mov_b64 s[16:17], 1
	s_waitcnt lgkmcnt(0)
	s_add_u32 s14, s2, 8
	s_addc_u32 s15, s3, 0
.LBB0_2:                                ; =>This Inner Loop Header: Depth=1
	s_load_b64 s[18:19], s[14:15], 0x0
                                        ; implicit-def: $vgpr7_vgpr8
	s_mov_b32 s2, exec_lo
	s_waitcnt lgkmcnt(0)
	v_or_b32_e32 v2, s19, v6
	s_delay_alu instid0(VALU_DEP_1)
	v_cmpx_ne_u64_e32 0, v[1:2]
	s_xor_b32 s3, exec_lo, s2
	s_cbranch_execz .LBB0_4
; %bb.3:                                ;   in Loop: Header=BB0_2 Depth=1
	v_cvt_f32_u32_e32 v2, s18
	v_cvt_f32_u32_e32 v7, s19
	s_sub_u32 s2, 0, s18
	s_subb_u32 s20, 0, s19
	s_delay_alu instid0(VALU_DEP_1) | instskip(NEXT) | instid1(VALU_DEP_1)
	v_fmac_f32_e32 v2, 0x4f800000, v7
	v_rcp_f32_e32 v2, v2
	s_waitcnt_depctr 0xfff
	v_mul_f32_e32 v2, 0x5f7ffffc, v2
	s_delay_alu instid0(VALU_DEP_1) | instskip(NEXT) | instid1(VALU_DEP_1)
	v_mul_f32_e32 v7, 0x2f800000, v2
	v_trunc_f32_e32 v7, v7
	s_delay_alu instid0(VALU_DEP_1) | instskip(SKIP_1) | instid1(VALU_DEP_2)
	v_fmac_f32_e32 v2, 0xcf800000, v7
	v_cvt_u32_f32_e32 v7, v7
	v_cvt_u32_f32_e32 v2, v2
	s_delay_alu instid0(VALU_DEP_2) | instskip(NEXT) | instid1(VALU_DEP_2)
	v_mul_lo_u32 v8, s2, v7
	v_mul_hi_u32 v9, s2, v2
	v_mul_lo_u32 v10, s20, v2
	s_delay_alu instid0(VALU_DEP_2) | instskip(SKIP_1) | instid1(VALU_DEP_2)
	v_add_nc_u32_e32 v8, v9, v8
	v_mul_lo_u32 v9, s2, v2
	v_add_nc_u32_e32 v8, v8, v10
	s_delay_alu instid0(VALU_DEP_2) | instskip(NEXT) | instid1(VALU_DEP_2)
	v_mul_hi_u32 v10, v2, v9
	v_mul_lo_u32 v11, v2, v8
	v_mul_hi_u32 v12, v2, v8
	v_mul_hi_u32 v13, v7, v9
	v_mul_lo_u32 v9, v7, v9
	v_mul_hi_u32 v14, v7, v8
	v_mul_lo_u32 v8, v7, v8
	v_add_co_u32 v10, vcc_lo, v10, v11
	v_add_co_ci_u32_e32 v11, vcc_lo, 0, v12, vcc_lo
	s_delay_alu instid0(VALU_DEP_2) | instskip(NEXT) | instid1(VALU_DEP_2)
	v_add_co_u32 v9, vcc_lo, v10, v9
	v_add_co_ci_u32_e32 v9, vcc_lo, v11, v13, vcc_lo
	v_add_co_ci_u32_e32 v10, vcc_lo, 0, v14, vcc_lo
	s_delay_alu instid0(VALU_DEP_2) | instskip(NEXT) | instid1(VALU_DEP_2)
	v_add_co_u32 v8, vcc_lo, v9, v8
	v_add_co_ci_u32_e32 v9, vcc_lo, 0, v10, vcc_lo
	s_delay_alu instid0(VALU_DEP_2) | instskip(NEXT) | instid1(VALU_DEP_2)
	v_add_co_u32 v2, vcc_lo, v2, v8
	v_add_co_ci_u32_e32 v7, vcc_lo, v7, v9, vcc_lo
	s_delay_alu instid0(VALU_DEP_2) | instskip(SKIP_1) | instid1(VALU_DEP_3)
	v_mul_hi_u32 v8, s2, v2
	v_mul_lo_u32 v10, s20, v2
	v_mul_lo_u32 v9, s2, v7
	s_delay_alu instid0(VALU_DEP_1) | instskip(SKIP_1) | instid1(VALU_DEP_2)
	v_add_nc_u32_e32 v8, v8, v9
	v_mul_lo_u32 v9, s2, v2
	v_add_nc_u32_e32 v8, v8, v10
	s_delay_alu instid0(VALU_DEP_2) | instskip(NEXT) | instid1(VALU_DEP_2)
	v_mul_hi_u32 v10, v2, v9
	v_mul_lo_u32 v11, v2, v8
	v_mul_hi_u32 v12, v2, v8
	v_mul_hi_u32 v13, v7, v9
	v_mul_lo_u32 v9, v7, v9
	v_mul_hi_u32 v14, v7, v8
	v_mul_lo_u32 v8, v7, v8
	v_add_co_u32 v10, vcc_lo, v10, v11
	v_add_co_ci_u32_e32 v11, vcc_lo, 0, v12, vcc_lo
	s_delay_alu instid0(VALU_DEP_2) | instskip(NEXT) | instid1(VALU_DEP_2)
	v_add_co_u32 v9, vcc_lo, v10, v9
	v_add_co_ci_u32_e32 v9, vcc_lo, v11, v13, vcc_lo
	v_add_co_ci_u32_e32 v10, vcc_lo, 0, v14, vcc_lo
	s_delay_alu instid0(VALU_DEP_2) | instskip(NEXT) | instid1(VALU_DEP_2)
	v_add_co_u32 v8, vcc_lo, v9, v8
	v_add_co_ci_u32_e32 v9, vcc_lo, 0, v10, vcc_lo
	s_delay_alu instid0(VALU_DEP_2) | instskip(NEXT) | instid1(VALU_DEP_2)
	v_add_co_u32 v2, vcc_lo, v2, v8
	v_add_co_ci_u32_e32 v13, vcc_lo, v7, v9, vcc_lo
	s_delay_alu instid0(VALU_DEP_2) | instskip(SKIP_1) | instid1(VALU_DEP_3)
	v_mul_hi_u32 v14, v5, v2
	v_mad_u64_u32 v[9:10], null, v6, v2, 0
	v_mad_u64_u32 v[7:8], null, v5, v13, 0
	;; [unrolled: 1-line block ×3, first 2 shown]
	s_delay_alu instid0(VALU_DEP_2) | instskip(NEXT) | instid1(VALU_DEP_3)
	v_add_co_u32 v2, vcc_lo, v14, v7
	v_add_co_ci_u32_e32 v7, vcc_lo, 0, v8, vcc_lo
	s_delay_alu instid0(VALU_DEP_2) | instskip(NEXT) | instid1(VALU_DEP_2)
	v_add_co_u32 v2, vcc_lo, v2, v9
	v_add_co_ci_u32_e32 v2, vcc_lo, v7, v10, vcc_lo
	v_add_co_ci_u32_e32 v7, vcc_lo, 0, v12, vcc_lo
	s_delay_alu instid0(VALU_DEP_2) | instskip(NEXT) | instid1(VALU_DEP_2)
	v_add_co_u32 v2, vcc_lo, v2, v11
	v_add_co_ci_u32_e32 v9, vcc_lo, 0, v7, vcc_lo
	s_delay_alu instid0(VALU_DEP_2) | instskip(SKIP_1) | instid1(VALU_DEP_3)
	v_mul_lo_u32 v10, s19, v2
	v_mad_u64_u32 v[7:8], null, s18, v2, 0
	v_mul_lo_u32 v11, s18, v9
	s_delay_alu instid0(VALU_DEP_2) | instskip(NEXT) | instid1(VALU_DEP_2)
	v_sub_co_u32 v7, vcc_lo, v5, v7
	v_add3_u32 v8, v8, v11, v10
	s_delay_alu instid0(VALU_DEP_1) | instskip(NEXT) | instid1(VALU_DEP_1)
	v_sub_nc_u32_e32 v10, v6, v8
	v_subrev_co_ci_u32_e64 v10, s2, s19, v10, vcc_lo
	v_add_co_u32 v11, s2, v2, 2
	s_delay_alu instid0(VALU_DEP_1) | instskip(SKIP_3) | instid1(VALU_DEP_3)
	v_add_co_ci_u32_e64 v12, s2, 0, v9, s2
	v_sub_co_u32 v13, s2, v7, s18
	v_sub_co_ci_u32_e32 v8, vcc_lo, v6, v8, vcc_lo
	v_subrev_co_ci_u32_e64 v10, s2, 0, v10, s2
	v_cmp_le_u32_e32 vcc_lo, s18, v13
	s_delay_alu instid0(VALU_DEP_3) | instskip(SKIP_1) | instid1(VALU_DEP_4)
	v_cmp_eq_u32_e64 s2, s19, v8
	v_cndmask_b32_e64 v13, 0, -1, vcc_lo
	v_cmp_le_u32_e32 vcc_lo, s19, v10
	v_cndmask_b32_e64 v14, 0, -1, vcc_lo
	v_cmp_le_u32_e32 vcc_lo, s18, v7
	;; [unrolled: 2-line block ×3, first 2 shown]
	v_cndmask_b32_e64 v15, 0, -1, vcc_lo
	v_cmp_eq_u32_e32 vcc_lo, s19, v10
	s_delay_alu instid0(VALU_DEP_2) | instskip(SKIP_3) | instid1(VALU_DEP_3)
	v_cndmask_b32_e64 v7, v15, v7, s2
	v_cndmask_b32_e32 v10, v14, v13, vcc_lo
	v_add_co_u32 v13, vcc_lo, v2, 1
	v_add_co_ci_u32_e32 v14, vcc_lo, 0, v9, vcc_lo
	v_cmp_ne_u32_e32 vcc_lo, 0, v10
	s_delay_alu instid0(VALU_DEP_2) | instskip(NEXT) | instid1(VALU_DEP_4)
	v_cndmask_b32_e32 v8, v14, v12, vcc_lo
	v_cndmask_b32_e32 v10, v13, v11, vcc_lo
	v_cmp_ne_u32_e32 vcc_lo, 0, v7
	s_delay_alu instid0(VALU_DEP_2)
	v_dual_cndmask_b32 v7, v2, v10 :: v_dual_cndmask_b32 v8, v9, v8
.LBB0_4:                                ;   in Loop: Header=BB0_2 Depth=1
	s_and_not1_saveexec_b32 s2, s3
	s_cbranch_execz .LBB0_6
; %bb.5:                                ;   in Loop: Header=BB0_2 Depth=1
	v_cvt_f32_u32_e32 v2, s18
	s_sub_i32 s3, 0, s18
	s_delay_alu instid0(VALU_DEP_1) | instskip(SKIP_2) | instid1(VALU_DEP_1)
	v_rcp_iflag_f32_e32 v2, v2
	s_waitcnt_depctr 0xfff
	v_mul_f32_e32 v2, 0x4f7ffffe, v2
	v_cvt_u32_f32_e32 v2, v2
	s_delay_alu instid0(VALU_DEP_1) | instskip(NEXT) | instid1(VALU_DEP_1)
	v_mul_lo_u32 v7, s3, v2
	v_mul_hi_u32 v7, v2, v7
	s_delay_alu instid0(VALU_DEP_1) | instskip(NEXT) | instid1(VALU_DEP_1)
	v_add_nc_u32_e32 v2, v2, v7
	v_mul_hi_u32 v2, v5, v2
	s_delay_alu instid0(VALU_DEP_1) | instskip(SKIP_1) | instid1(VALU_DEP_2)
	v_mul_lo_u32 v7, v2, s18
	v_add_nc_u32_e32 v8, 1, v2
	v_sub_nc_u32_e32 v7, v5, v7
	s_delay_alu instid0(VALU_DEP_1) | instskip(SKIP_1) | instid1(VALU_DEP_2)
	v_subrev_nc_u32_e32 v9, s18, v7
	v_cmp_le_u32_e32 vcc_lo, s18, v7
	v_dual_cndmask_b32 v7, v7, v9 :: v_dual_cndmask_b32 v2, v2, v8
	s_delay_alu instid0(VALU_DEP_1) | instskip(NEXT) | instid1(VALU_DEP_2)
	v_cmp_le_u32_e32 vcc_lo, s18, v7
	v_add_nc_u32_e32 v8, 1, v2
	s_delay_alu instid0(VALU_DEP_1)
	v_dual_cndmask_b32 v7, v2, v8 :: v_dual_mov_b32 v8, v1
.LBB0_6:                                ;   in Loop: Header=BB0_2 Depth=1
	s_or_b32 exec_lo, exec_lo, s2
	s_load_b64 s[2:3], s[12:13], 0x0
	s_delay_alu instid0(VALU_DEP_1) | instskip(NEXT) | instid1(VALU_DEP_2)
	v_mul_lo_u32 v2, v8, s18
	v_mul_lo_u32 v11, v7, s19
	v_mad_u64_u32 v[9:10], null, v7, s18, 0
	s_add_u32 s16, s16, 1
	s_addc_u32 s17, s17, 0
	s_add_u32 s12, s12, 8
	s_addc_u32 s13, s13, 0
	;; [unrolled: 2-line block ×3, first 2 shown]
	s_delay_alu instid0(VALU_DEP_1) | instskip(SKIP_1) | instid1(VALU_DEP_2)
	v_add3_u32 v2, v10, v11, v2
	v_sub_co_u32 v9, vcc_lo, v5, v9
	v_sub_co_ci_u32_e32 v2, vcc_lo, v6, v2, vcc_lo
	s_waitcnt lgkmcnt(0)
	s_delay_alu instid0(VALU_DEP_2) | instskip(NEXT) | instid1(VALU_DEP_2)
	v_mul_lo_u32 v10, s3, v9
	v_mul_lo_u32 v2, s2, v2
	v_mad_u64_u32 v[5:6], null, s2, v9, v[3:4]
	v_cmp_ge_u64_e64 s2, s[16:17], s[6:7]
	s_delay_alu instid0(VALU_DEP_1) | instskip(NEXT) | instid1(VALU_DEP_2)
	s_and_b32 vcc_lo, exec_lo, s2
	v_add3_u32 v4, v10, v6, v2
	s_delay_alu instid0(VALU_DEP_3)
	v_mov_b32_e32 v3, v5
	s_cbranch_vccnz .LBB0_9
; %bb.7:                                ;   in Loop: Header=BB0_2 Depth=1
	v_dual_mov_b32 v5, v7 :: v_dual_mov_b32 v6, v8
	s_branch .LBB0_2
.LBB0_8:
	v_dual_mov_b32 v8, v6 :: v_dual_mov_b32 v7, v5
.LBB0_9:
	s_lshl_b64 s[2:3], s[6:7], 3
	v_mul_hi_u32 v1, 0x2222223, v0
	s_add_u32 s2, s10, s2
	s_addc_u32 s3, s11, s3
	s_load_b64 s[0:1], s[0:1], 0x20
	s_load_b64 s[2:3], s[2:3], 0x0
	s_delay_alu instid0(VALU_DEP_1) | instskip(NEXT) | instid1(VALU_DEP_1)
	v_mul_u32_u24_e32 v1, 0x78, v1
	v_sub_nc_u32_e32 v20, v0, v1
	s_delay_alu instid0(VALU_DEP_1)
	v_add_nc_u32_e32 v22, 0x78, v20
	v_add_nc_u32_e32 v30, 0xf0, v20
	;; [unrolled: 1-line block ×4, first 2 shown]
	s_waitcnt lgkmcnt(0)
	v_cmp_gt_u64_e32 vcc_lo, s[0:1], v[7:8]
	v_mul_lo_u32 v2, s2, v8
	v_mul_lo_u32 v5, s3, v7
	v_mad_u64_u32 v[0:1], null, s2, v7, v[3:4]
	v_cmp_le_u64_e64 s0, s[0:1], v[7:8]
	s_delay_alu instid0(VALU_DEP_2) | instskip(NEXT) | instid1(VALU_DEP_2)
	v_add3_u32 v1, v5, v1, v2
	s_and_saveexec_b32 s1, s0
	s_delay_alu instid0(SALU_CYCLE_1)
	s_xor_b32 s0, exec_lo, s1
; %bb.10:
	v_add_nc_u32_e32 v22, 0x78, v20
	v_add_nc_u32_e32 v30, 0xf0, v20
	;; [unrolled: 1-line block ×4, first 2 shown]
; %bb.11:
	s_or_saveexec_b32 s1, s0
	v_lshlrev_b64 v[26:27], 2, v[0:1]
	v_or_b32_e32 v24, 0x780, v20
	s_xor_b32 exec_lo, exec_lo, s1
	s_cbranch_execz .LBB0_13
; %bb.12:
	v_mov_b32_e32 v21, 0
	s_delay_alu instid0(VALU_DEP_3) | instskip(NEXT) | instid1(VALU_DEP_1)
	v_add_co_u32 v8, s0, s8, v26
	v_add_co_ci_u32_e64 v9, s0, s9, v27, s0
	s_delay_alu instid0(VALU_DEP_3) | instskip(SKIP_1) | instid1(VALU_DEP_1)
	v_lshlrev_b64 v[0:1], 2, v[20:21]
	v_mov_b32_e32 v25, v21
	v_lshlrev_b64 v[4:5], 2, v[24:25]
	s_delay_alu instid0(VALU_DEP_3) | instskip(NEXT) | instid1(VALU_DEP_1)
	v_add_co_u32 v0, s0, v8, v0
	v_add_co_ci_u32_e64 v1, s0, v9, v1, s0
	s_clause 0x7
	global_load_b32 v10, v[0:1], off
	global_load_b32 v11, v[0:1], off offset:480
	global_load_b32 v12, v[0:1], off offset:960
	;; [unrolled: 1-line block ×7, first 2 shown]
	v_add_co_u32 v2, s0, 0x1000, v0
	s_delay_alu instid0(VALU_DEP_1) | instskip(SKIP_1) | instid1(VALU_DEP_1)
	v_add_co_ci_u32_e64 v3, s0, 0, v1, s0
	v_add_co_u32 v6, s0, 0x2000, v0
	v_add_co_ci_u32_e64 v7, s0, 0, v1, s0
	v_add_co_u32 v4, s0, v8, v4
	s_delay_alu instid0(VALU_DEP_1)
	v_add_co_ci_u32_e64 v5, s0, v9, v5, s0
	s_clause 0x7
	global_load_b32 v18, v[0:1], off offset:3840
	global_load_b32 v19, v[2:3], off offset:224
	;; [unrolled: 1-line block ×8, first 2 shown]
	v_add_co_u32 v0, s0, 0x3000, v0
	s_delay_alu instid0(VALU_DEP_1)
	v_add_co_ci_u32_e64 v1, s0, 0, v1, s0
	s_clause 0xd
	global_load_b32 v8, v[6:7], off offset:448
	global_load_b32 v9, v[6:7], off offset:928
	;; [unrolled: 1-line block ×6, first 2 shown]
	global_load_b32 v4, v[4:5], off
	global_load_b32 v2, v[2:3], off offset:4064
	global_load_b32 v3, v[6:7], off offset:3328
	;; [unrolled: 1-line block ×7, first 2 shown]
	v_lshl_add_u32 v1, v20, 2, 0
	s_delay_alu instid0(VALU_DEP_1)
	v_add_nc_u32_e32 v42, 0xe00, v1
	v_add_nc_u32_e32 v39, 0x200, v1
	;; [unrolled: 1-line block ×14, first 2 shown]
	s_waitcnt vmcnt(28)
	ds_store_2addr_b32 v1, v10, v11 offset1:120
	s_waitcnt vmcnt(26)
	ds_store_2addr_b32 v39, v12, v13 offset0:112 offset1:232
	s_waitcnt vmcnt(24)
	ds_store_2addr_b32 v40, v14, v15 offset0:96 offset1:216
	;; [unrolled: 2-line block ×8, first 2 shown]
	ds_store_2addr_b32 v47, v8, v9 offset0:112 offset1:232
	ds_store_2addr_b32 v48, v25, v35 offset0:96 offset1:216
	;; [unrolled: 1-line block ×3, first 2 shown]
	s_waitcnt vmcnt(4)
	ds_store_2addr_b32 v50, v3, v5 offset0:64 offset1:184
	s_waitcnt vmcnt(2)
	ds_store_2addr_b32 v51, v6, v7 offset0:48 offset1:168
	;; [unrolled: 2-line block ×3, first 2 shown]
.LBB0_13:
	s_or_b32 exec_lo, exec_lo, s1
	v_lshlrev_b32_e32 v21, 2, v20
	s_waitcnt lgkmcnt(0)
	s_barrier
	buffer_gl0_inv
	v_mul_u32_u24_e32 v87, 10, v20
	v_add_nc_u32_e32 v41, 0, v21
	v_cmp_gt_u32_e64 s0, 0x64, v20
	s_add_u32 s1, s4, 0x3818
	s_addc_u32 s2, s5, 0
	v_lshl_add_u32 v87, v87, 2, 0
	v_add_nc_u32_e32 v43, 0x1a00, v41
	v_add_nc_u32_e32 v44, 0x2400, v41
	v_add_nc_u32_e32 v45, 0xe00, v41
	v_add_nc_u32_e32 v19, 0x3000, v41
	v_add_nc_u32_e32 v8, 0x200, v41
	ds_load_2addr_b32 v[4:5], v43 offset0:16 offset1:136
	ds_load_2addr_b32 v[2:3], v44 offset0:96 offset1:216
	;; [unrolled: 1-line block ×4, first 2 shown]
	v_add_nc_u32_e32 v49, 0x600, v41
	v_add_nc_u32_e32 v48, 0x1200, v41
	;; [unrolled: 1-line block ×3, first 2 shown]
	ds_load_2addr_b32 v[8:9], v8 offset0:112 offset1:232
	v_add_nc_u32_e32 v47, 0x2800, v41
	v_add_nc_u32_e32 v46, 0x3400, v41
	ds_load_2addr_b32 v[39:40], v49 offset0:96 offset1:216
	ds_load_2addr_b32 v[37:38], v48 offset0:48 offset1:168
	;; [unrolled: 1-line block ×5, first 2 shown]
	s_mov_b32 s3, exec_lo
	s_waitcnt lgkmcnt(9)
	v_lshrrev_b32_e32 v25, 16, v4
	s_waitcnt lgkmcnt(8)
	v_add_f16_e32 v14, v4, v2
	s_waitcnt lgkmcnt(7)
	v_lshrrev_b32_e32 v15, 16, v6
	s_waitcnt lgkmcnt(6)
	v_lshrrev_b32_e32 v18, 16, v0
	v_lshrrev_b32_e32 v31, 16, v2
	v_add_f16_e32 v34, v6, v0
	v_sub_f16_e32 v32, v0, v2
	s_waitcnt lgkmcnt(5)
	v_fma_f16 v63, -0.5, v14, v8
	v_sub_f16_e32 v14, v15, v18
	v_sub_f16_e32 v51, v25, v31
	v_fma_f16 v60, -0.5, v34, v8
	v_sub_f16_e32 v33, v6, v4
	v_sub_f16_e32 v35, v2, v0
	v_fmamk_f16 v61, v14, 0x3b9c, v63
	v_fmac_f16_e32 v63, 0xbb9c, v14
	v_fmamk_f16 v62, v51, 0xbb9c, v60
	v_fmac_f16_e32 v60, 0x3b9c, v51
	v_sub_f16_e32 v36, v4, v6
	v_lshrrev_b32_e32 v42, 16, v8
	v_add_f16_e32 v32, v33, v32
	v_add_f16_e32 v34, v25, v31
	v_fmac_f16_e32 v61, 0x38b4, v51
	v_fmac_f16_e32 v63, 0xb8b4, v51
	;; [unrolled: 1-line block ×4, first 2 shown]
	v_add_f16_e32 v14, v15, v18
	v_sub_f16_e32 v50, v6, v0
	v_add_f16_e32 v33, v36, v35
	v_fma_f16 v67, -0.5, v34, v42
	v_fmac_f16_e32 v61, 0x34f2, v32
	v_fmac_f16_e32 v63, 0x34f2, v32
	v_sub_f16_e32 v32, v4, v2
	v_fmac_f16_e32 v42, -0.5, v14
	v_fmac_f16_e32 v62, 0x34f2, v33
	v_fmamk_f16 v64, v50, 0xbb9c, v67
	v_sub_f16_e32 v34, v15, v25
	v_sub_f16_e32 v35, v18, v31
	v_fmac_f16_e32 v67, 0x3b9c, v50
	v_fmac_f16_e32 v60, 0x34f2, v33
	v_fmamk_f16 v65, v32, 0x3b9c, v42
	s_waitcnt lgkmcnt(1)
	v_add_f16_e32 v33, v17, v13
	v_sub_f16_e32 v15, v25, v15
	v_sub_f16_e32 v18, v31, v18
	v_fmac_f16_e32 v42, 0xbb9c, v32
	v_fmac_f16_e32 v64, 0xb8b4, v32
	v_add_f16_e32 v14, v34, v35
	v_fmac_f16_e32 v67, 0x38b4, v32
	v_lshrrev_b32_e32 v34, 16, v38
	s_waitcnt lgkmcnt(0)
	v_lshrrev_b32_e32 v35, 16, v11
	v_fmac_f16_e32 v65, 0xb8b4, v50
	v_fma_f16 v55, -0.5, v33, v40
	v_lshrrev_b32_e32 v33, 16, v17
	v_lshrrev_b32_e32 v36, 16, v13
	v_add_f16_e32 v51, v38, v11
	v_add_f16_e32 v15, v15, v18
	v_fmac_f16_e32 v42, 0x38b4, v50
	v_fmac_f16_e32 v64, 0x34f2, v14
	;; [unrolled: 1-line block ×3, first 2 shown]
	v_sub_f16_e32 v14, v34, v35
	v_sub_f16_e32 v31, v33, v36
	;; [unrolled: 1-line block ×4, first 2 shown]
	v_fma_f16 v56, -0.5, v51, v40
	v_fmac_f16_e32 v65, 0x34f2, v15
	v_fmac_f16_e32 v42, 0x34f2, v15
	v_add_f16_e32 v15, v33, v36
	v_lshrrev_b32_e32 v58, 16, v40
	v_add_f16_e32 v50, v34, v35
	v_fmamk_f16 v25, v14, 0x3b9c, v55
	v_add_f16_e32 v18, v52, v32
	v_fmac_f16_e32 v55, 0xbb9c, v14
	v_fmamk_f16 v57, v31, 0xbb9c, v56
	v_sub_f16_e32 v32, v13, v11
	v_sub_f16_e32 v51, v17, v38
	v_fma_f16 v59, -0.5, v15, v58
	v_sub_f16_e32 v52, v17, v13
	v_fmac_f16_e32 v58, -0.5, v50
	v_fmac_f16_e32 v56, 0x3b9c, v31
	v_fmac_f16_e32 v25, 0x38b4, v31
	v_fmac_f16_e32 v55, 0xb8b4, v31
	v_sub_f16_e32 v15, v38, v11
	v_add_f16_e32 v32, v51, v32
	v_sub_f16_e32 v31, v34, v33
	v_fmamk_f16 v68, v52, 0x3b9c, v58
	v_sub_f16_e32 v33, v33, v34
	v_sub_f16_e32 v34, v36, v35
	v_fmac_f16_e32 v56, 0xb8b4, v14
	v_fmac_f16_e32 v58, 0xbb9c, v52
	v_fmac_f16_e32 v57, 0x38b4, v14
	v_fmamk_f16 v66, v15, 0xbb9c, v59
	v_sub_f16_e32 v35, v35, v36
	v_fmac_f16_e32 v68, 0xb8b4, v15
	v_add_f16_e32 v14, v33, v34
	v_fmac_f16_e32 v56, 0x34f2, v32
	v_fmac_f16_e32 v59, 0x3b9c, v15
	;; [unrolled: 1-line block ×5, first 2 shown]
	v_add_f16_e32 v31, v31, v35
	v_fmac_f16_e32 v55, 0x34f2, v18
	v_fmac_f16_e32 v68, 0x34f2, v14
	v_pk_add_f16 v18, v40, v38
	v_fmac_f16_e32 v59, 0x38b4, v52
	v_fmac_f16_e32 v58, 0x34f2, v14
	v_mul_f16_e32 v14, 0x34f2, v56
	v_add_nc_u32_e32 v40, 0x1600, v41
	v_add_nc_u32_e32 v38, 0x2000, v41
	;; [unrolled: 1-line block ×4, first 2 shown]
	v_fmac_f16_e32 v57, 0x34f2, v32
	v_fmac_f16_e32 v66, 0x34f2, v31
	v_pk_add_f16 v71, v18, v17
	v_fmac_f16_e32 v59, 0x34f2, v31
	v_fma_f16 v72, v58, 0x3b9c, -v14
	ds_load_2addr_b32 v[17:18], v40 offset0:32 offset1:152
	ds_load_2addr_b32 v[31:32], v38 offset0:112 offset1:232
	;; [unrolled: 1-line block ×4, first 2 shown]
	ds_load_2addr_b32 v[35:36], v41 offset1:120
	v_mul_f16_e32 v69, 0x3a79, v25
	v_mul_f16_e32 v70, 0x3b9c, v68
	;; [unrolled: 1-line block ×5, first 2 shown]
	v_fmac_f16_e32 v69, 0x38b4, v66
	v_fmac_f16_e32 v70, 0x34f2, v57
	v_add_f16_e32 v54, v60, v72
	v_mul_f16_e32 v57, 0x34f2, v58
	v_mul_f16_e32 v58, 0x3a79, v59
	v_add_f16_e32 v53, v61, v69
	v_add_f16_e32 v52, v62, v70
	v_fma_f16 v73, v59, 0x38b4, -v73
	v_fmac_f16_e32 v25, 0x3a79, v66
	v_fmac_f16_e32 v74, 0x34f2, v68
	v_sub_f16_e32 v61, v61, v69
	s_waitcnt lgkmcnt(3)
	v_add_f16_e32 v75, v18, v32
	s_waitcnt lgkmcnt(2)
	v_lshrrev_b32_e32 v76, 16, v34
	s_waitcnt lgkmcnt(1)
	v_lshrrev_b32_e32 v77, 16, v15
	v_sub_f16_e32 v62, v62, v70
	v_sub_f16_e32 v60, v60, v72
	s_waitcnt lgkmcnt(0)
	v_fma_f16 v72, -0.5, v75, v36
	v_lshrrev_b32_e32 v70, 16, v18
	v_sub_f16_e32 v69, v76, v77
	v_lshrrev_b32_e32 v75, 16, v32
	v_fma_f16 v66, v56, 0xbb9c, -v57
	v_fma_f16 v68, v55, 0xb8b4, -v58
	v_add_f16_e32 v55, v63, v73
	v_add_f16_e32 v58, v64, v25
	;; [unrolled: 1-line block ×3, first 2 shown]
	v_sub_f16_e32 v63, v63, v73
	v_sub_f16_e32 v64, v64, v25
	;; [unrolled: 1-line block ×3, first 2 shown]
	v_fmamk_f16 v25, v69, 0x3b9c, v72
	v_sub_f16_e32 v73, v70, v75
	v_sub_f16_e32 v74, v15, v32
	v_sub_f16_e32 v78, v34, v18
	v_add_f16_e32 v79, v34, v15
	v_fmac_f16_e32 v72, 0xbb9c, v69
	v_add_f16_e32 v59, v42, v66
	v_sub_f16_e32 v66, v42, v66
	v_fmac_f16_e32 v25, 0x38b4, v73
	v_add_f16_e32 v42, v78, v74
	v_fma_f16 v74, -0.5, v79, v36
	v_fmac_f16_e32 v72, 0xb8b4, v73
	v_add_f16_e32 v78, v70, v75
	v_lshrrev_b32_e32 v79, 16, v36
	v_fmac_f16_e32 v25, 0x34f2, v42
	v_sub_f16_e32 v81, v18, v34
	v_fmac_f16_e32 v72, 0x34f2, v42
	v_add_f16_e32 v57, v67, v68
	v_fma_f16 v42, -0.5, v78, v79
	v_sub_f16_e32 v78, v32, v15
	v_sub_f16_e32 v67, v67, v68
	v_fmamk_f16 v80, v73, 0xbb9c, v74
	v_sub_f16_e32 v68, v34, v15
	v_fmac_f16_e32 v74, 0x3b9c, v73
	v_add_f16_e32 v78, v81, v78
	v_add_f16_e32 v81, v76, v77
	v_fmac_f16_e32 v80, 0x38b4, v69
	v_fmamk_f16 v73, v68, 0xbb9c, v42
	v_sub_f16_e32 v82, v18, v32
	v_sub_f16_e32 v83, v76, v70
	;; [unrolled: 1-line block ×3, first 2 shown]
	v_fmac_f16_e32 v74, 0xb8b4, v69
	v_fmac_f16_e32 v42, 0x3b9c, v68
	v_fmac_f16_e32 v79, -0.5, v81
	v_sub_f16_e32 v70, v70, v76
	v_sub_f16_e32 v75, v75, v77
	v_add_f16_e32 v76, v16, v12
	v_lshrrev_b32_e32 v77, 16, v37
	v_lshrrev_b32_e32 v81, 16, v10
	v_fmac_f16_e32 v73, 0xb8b4, v82
	v_add_f16_e32 v69, v83, v84
	v_fmac_f16_e32 v80, 0x34f2, v78
	v_fmac_f16_e32 v74, 0x34f2, v78
	;; [unrolled: 1-line block ×3, first 2 shown]
	v_fmamk_f16 v78, v82, 0x3b9c, v79
	v_add_f16_e32 v70, v70, v75
	v_fmac_f16_e32 v79, 0xbb9c, v82
	v_fma_f16 v75, -0.5, v76, v39
	v_sub_f16_e32 v76, v77, v81
	v_lshrrev_b32_e32 v82, 16, v16
	v_lshrrev_b32_e32 v83, 16, v12
	v_fmac_f16_e32 v73, 0x34f2, v69
	v_fmac_f16_e32 v78, 0xb8b4, v68
	;; [unrolled: 1-line block ×4, first 2 shown]
	v_fmamk_f16 v68, v76, 0x3b9c, v75
	v_sub_f16_e32 v69, v82, v83
	v_sub_f16_e32 v84, v10, v12
	;; [unrolled: 1-line block ×3, first 2 shown]
	v_fmac_f16_e32 v75, 0xbb9c, v76
	v_add_f16_e32 v86, v37, v10
	v_fmac_f16_e32 v78, 0x34f2, v70
	v_fmac_f16_e32 v79, 0x34f2, v70
	;; [unrolled: 1-line block ×3, first 2 shown]
	v_add_f16_e32 v70, v85, v84
	v_fmac_f16_e32 v75, 0xb8b4, v69
	v_fma_f16 v84, -0.5, v86, v39
	v_sub_f16_e32 v85, v12, v10
	v_sub_f16_e32 v86, v16, v37
	v_pk_add_f16 v13, v71, v13
	v_fmac_f16_e32 v68, 0x34f2, v70
	v_fmac_f16_e32 v75, 0x34f2, v70
	v_fmamk_f16 v70, v69, 0xbb9c, v84
	v_add_f16_e32 v71, v86, v85
	v_fmac_f16_e32 v84, 0x3b9c, v69
	v_add_f16_e32 v69, v82, v83
	v_lshrrev_b32_e32 v85, 16, v39
	v_pk_add_f16 v11, v13, v11
	v_pk_add_f16 v13, v39, v37
	v_fmac_f16_e32 v70, 0x38b4, v76
	v_fmac_f16_e32 v84, 0xb8b4, v76
	v_fma_f16 v39, -0.5, v69, v85
	v_add_f16_e32 v69, v77, v81
	v_sub_f16_e32 v37, v37, v10
	v_sub_f16_e32 v76, v16, v12
	;; [unrolled: 1-line block ×4, first 2 shown]
	v_fmac_f16_e32 v85, -0.5, v69
	v_sub_f16_e32 v82, v83, v81
	v_pk_add_f16 v34, v36, v34
	v_sub_f16_e32 v36, v81, v83
	v_fmamk_f16 v69, v37, 0xbb9c, v39
	v_fmamk_f16 v81, v76, 0x3b9c, v85
	v_fmac_f16_e32 v85, 0xbb9c, v76
	v_add_f16_e32 v77, v77, v82
	v_pk_add_f16 v82, v34, v18
	v_fmac_f16_e32 v69, 0xb8b4, v76
	v_fmac_f16_e32 v81, 0xb8b4, v37
	v_add_f16_e32 v18, v86, v36
	v_fmac_f16_e32 v85, 0x38b4, v37
	v_fmac_f16_e32 v39, 0x3b9c, v37
	;; [unrolled: 1-line block ×7, first 2 shown]
	v_mul_f16_e32 v34, 0x3a79, v68
	v_fmac_f16_e32 v39, 0x38b4, v76
	v_pk_add_f16 v13, v13, v16
	v_mul_f16_e32 v71, 0x3b9c, v81
	v_mul_f16_e32 v16, 0x34f2, v84
	v_fmac_f16_e32 v34, 0x38b4, v69
	v_fmac_f16_e32 v39, 0x34f2, v18
	v_mul_f16_e32 v18, 0x3a79, v75
	v_mul_f16_e32 v83, 0xbb9c, v70
	;; [unrolled: 1-line block ×3, first 2 shown]
	v_pk_add_f16 v12, v13, v12
	v_fmac_f16_e32 v71, 0x34f2, v70
	v_fma_f16 v76, v85, 0x3b9c, -v16
	v_add_f16_e32 v13, v25, v34
	v_mul_f16_e32 v77, 0xb8b4, v68
	v_fma_f16 v85, v39, 0x38b4, -v18
	v_fmac_f16_e32 v83, 0x34f2, v81
	v_fma_f16 v81, v84, 0xbb9c, -v36
	v_sub_f16_e32 v34, v25, v34
	v_add_f16_e32 v25, v17, v31
	v_lshrrev_b32_e32 v84, 16, v33
	v_lshrrev_b32_e32 v86, 16, v14
	v_pk_add_f16 v10, v12, v10
	v_add_f16_e32 v12, v80, v71
	v_add_f16_e32 v16, v74, v76
	v_mul_f16_e32 v37, 0x3a79, v39
	v_fmac_f16_e32 v77, 0x3a79, v69
	v_add_f16_e32 v18, v72, v85
	v_sub_f16_e32 v70, v80, v71
	v_sub_f16_e32 v39, v74, v76
	;; [unrolled: 1-line block ×3, first 2 shown]
	v_fma_f16 v76, -0.5, v25, v35
	v_sub_f16_e32 v25, v84, v86
	v_lshrrev_b32_e32 v80, 16, v17
	v_lshrrev_b32_e32 v85, 16, v31
	v_fma_f16 v75, v75, 0xb8b4, -v37
	v_add_f16_e32 v68, v73, v77
	v_add_f16_e32 v36, v78, v83
	v_add_f16_e32 v69, v79, v81
	v_sub_f16_e32 v73, v73, v77
	v_sub_f16_e32 v74, v78, v83
	;; [unrolled: 1-line block ×3, first 2 shown]
	v_fmamk_f16 v77, v25, 0x3b9c, v76
	v_sub_f16_e32 v79, v80, v85
	v_sub_f16_e32 v78, v14, v31
	;; [unrolled: 1-line block ×3, first 2 shown]
	v_fmac_f16_e32 v76, 0xbb9c, v25
	v_add_f16_e32 v83, v33, v14
	v_add_f16_e32 v37, v42, v75
	v_sub_f16_e32 v75, v42, v75
	v_fmac_f16_e32 v77, 0x38b4, v79
	v_add_f16_e32 v42, v81, v78
	v_fmac_f16_e32 v76, 0xb8b4, v79
	v_fma_f16 v78, -0.5, v83, v35
	v_sub_f16_e32 v81, v31, v14
	v_sub_f16_e32 v83, v17, v33
	v_fmac_f16_e32 v77, 0x34f2, v42
	v_fmac_f16_e32 v76, 0x34f2, v42
	v_pk_add_f16 v82, v82, v32
	v_fmamk_f16 v32, v79, 0xbb9c, v78
	v_add_f16_e32 v42, v83, v81
	v_pk_add_f16 v81, v35, v33
	v_lshrrev_b32_e32 v35, 16, v35
	v_add_f16_e32 v83, v80, v85
	v_sub_f16_e32 v33, v33, v14
	v_pk_add_f16 v15, v82, v15
	v_pk_add_f16 v81, v81, v17
	v_fmac_f16_e32 v78, 0x3b9c, v79
	v_fma_f16 v83, -0.5, v83, v35
	v_sub_f16_e32 v17, v17, v31
	v_sub_f16_e32 v82, v86, v85
	v_pk_add_f16 v79, v81, v31
	v_sub_f16_e32 v31, v84, v80
	v_fmamk_f16 v81, v33, 0xbb9c, v83
	v_fmac_f16_e32 v83, 0x3b9c, v33
	v_fmac_f16_e32 v32, 0x38b4, v25
	v_add_f16_e32 v88, v84, v86
	v_fmac_f16_e32 v78, 0xb8b4, v25
	v_fmac_f16_e32 v81, 0xb8b4, v17
	v_add_f16_e32 v25, v31, v82
	v_fmac_f16_e32 v83, 0x38b4, v17
	v_fmac_f16_e32 v32, 0x34f2, v42
	v_fmac_f16_e32 v35, -0.5, v88
	v_fmac_f16_e32 v78, 0x34f2, v42
	v_pk_add_f16 v14, v79, v14
	v_fmac_f16_e32 v81, 0x34f2, v25
	v_fmac_f16_e32 v83, 0x34f2, v25
	v_sub_f16_e32 v25, v80, v84
	v_sub_f16_e32 v42, v85, v86
	v_add_f16_e32 v79, v5, v3
	v_lshrrev_b32_e32 v80, 16, v7
	v_lshrrev_b32_e32 v82, 16, v1
	v_fmamk_f16 v31, v17, 0x3b9c, v35
	v_add_f16_e32 v25, v25, v42
	v_fmac_f16_e32 v35, 0xbb9c, v17
	v_fma_f16 v17, -0.5, v79, v9
	v_sub_f16_e32 v42, v80, v82
	v_lshrrev_b32_e32 v79, 16, v5
	v_lshrrev_b32_e32 v84, 16, v3
	v_fmac_f16_e32 v31, 0xb8b4, v33
	v_fmac_f16_e32 v35, 0x38b4, v33
	v_sub_f16_e32 v33, v1, v3
	v_sub_f16_e32 v85, v7, v5
	v_fmamk_f16 v86, v42, 0x3b9c, v17
	v_sub_f16_e32 v88, v79, v84
	v_fmac_f16_e32 v17, 0xbb9c, v42
	v_add_f16_e32 v89, v7, v1
	v_pk_add_f16 v6, v8, v6
	v_add_f16_e32 v33, v85, v33
	v_fmac_f16_e32 v86, 0x38b4, v88
	v_fmac_f16_e32 v17, 0xb8b4, v88
	v_fma_f16 v8, -0.5, v89, v9
	v_fmac_f16_e32 v31, 0x34f2, v25
	v_fmac_f16_e32 v35, 0x34f2, v25
	v_sub_f16_e32 v25, v3, v1
	v_sub_f16_e32 v85, v5, v7
	v_pk_add_f16 v4, v6, v4
	v_fmac_f16_e32 v86, 0x34f2, v33
	v_fmac_f16_e32 v17, 0x34f2, v33
	v_fmamk_f16 v33, v88, 0xbb9c, v8
	v_fmac_f16_e32 v8, 0x3b9c, v88
	v_add_f16_e32 v6, v85, v25
	v_pk_add_f16 v25, v9, v7
	v_lshrrev_b32_e32 v9, 16, v9
	v_pk_add_f16 v2, v4, v2
	v_add_f16_e32 v88, v79, v84
	v_add_f16_e32 v89, v80, v82
	v_fmac_f16_e32 v33, 0x38b4, v42
	v_fmac_f16_e32 v8, 0xb8b4, v42
	v_mul_i32_i24_e32 v85, 10, v30
	v_pk_add_f16 v4, v25, v5
	v_sub_f16_e32 v5, v5, v3
	v_pk_add_f16 v0, v2, v0
	v_fma_f16 v2, -0.5, v88, v9
	v_fmac_f16_e32 v9, -0.5, v89
	v_sub_f16_e32 v7, v7, v1
	v_lshl_add_u32 v25, v85, 2, 0
	v_sub_f16_e32 v85, v80, v79
	v_sub_f16_e32 v79, v79, v80
	;; [unrolled: 1-line block ×4, first 2 shown]
	v_fmac_f16_e32 v33, 0x34f2, v6
	v_fmac_f16_e32 v8, 0x34f2, v6
	v_fmamk_f16 v6, v5, 0x3b9c, v9
	v_fmac_f16_e32 v9, 0xbb9c, v5
	v_add_f16_e32 v79, v79, v82
	v_add_f16_e32 v80, v85, v80
	v_fmamk_f16 v85, v7, 0xbb9c, v2
	v_fmac_f16_e32 v6, 0xb8b4, v7
	v_fmac_f16_e32 v2, 0x3b9c, v7
	;; [unrolled: 1-line block ×3, first 2 shown]
	v_mul_f16_e32 v7, 0x34f2, v8
	v_fmac_f16_e32 v85, 0xb8b4, v5
	v_fmac_f16_e32 v6, 0x34f2, v79
	;; [unrolled: 1-line block ×4, first 2 shown]
	v_mul_f16_e32 v79, 0x3a79, v17
	v_pk_add_f16 v3, v4, v3
	v_mul_f16_e32 v5, 0x3b9c, v6
	v_fmac_f16_e32 v2, 0x34f2, v80
	v_fmac_f16_e32 v85, 0x34f2, v80
	v_mul_f16_e32 v4, 0x3a79, v86
	v_fma_f16 v7, v9, 0x3b9c, -v7
	v_fmac_f16_e32 v5, 0x34f2, v33
	v_mul_f16_e32 v86, 0xb8b4, v86
	v_mul_f16_e32 v33, 0xbb9c, v33
	v_mul_f16_e32 v9, 0x34f2, v9
	v_fma_f16 v79, v2, 0x38b4, -v79
	v_mul_f16_e32 v2, 0x3a79, v2
	v_fmac_f16_e32 v4, 0x38b4, v85
	v_fmac_f16_e32 v86, 0x3a79, v85
	;; [unrolled: 1-line block ×3, first 2 shown]
	v_fma_f16 v6, v8, 0xbb9c, -v9
	v_fma_f16 v2, v17, 0xb8b4, -v2
	v_pk_add_f16 v1, v3, v1
	v_add_f16_e32 v3, v77, v4
	v_add_f16_e32 v88, v78, v7
	;; [unrolled: 1-line block ×4, first 2 shown]
	v_sub_f16_e32 v7, v78, v7
	v_sub_f16_e32 v6, v35, v6
	v_add_f16_e32 v80, v32, v5
	v_add_f16_e32 v17, v31, v33
	;; [unrolled: 1-line block ×3, first 2 shown]
	v_sub_f16_e32 v4, v77, v4
	v_add_f16_e32 v77, v83, v2
	v_sub_f16_e32 v5, v32, v5
	v_sub_f16_e32 v32, v76, v79
	;; [unrolled: 1-line block ×5, first 2 shown]
	v_pk_add_f16 v8, v14, v1
	v_pack_b32_f16 v3, v3, v9
	v_pack_b32_f16 v6, v7, v6
	v_and_b32_e32 v7, 0xff, v20
	v_pack_b32_f16 v9, v88, v85
	v_pack_b32_f16 v17, v80, v17
	v_pk_add_f16 v1, v14, v1 neg_lo:[0,1] neg_hi:[0,1]
	v_pack_b32_f16 v14, v89, v77
	v_pack_b32_f16 v4, v4, v76
	;; [unrolled: 1-line block ×4, first 2 shown]
	s_barrier
	buffer_gl0_inv
	ds_store_2addr_b32 v87, v8, v3 offset1:1
	ds_store_2addr_b32 v87, v17, v9 offset0:2 offset1:3
	ds_store_2addr_b32 v87, v14, v1 offset0:4 offset1:5
	;; [unrolled: 1-line block ×4, first 2 shown]
	v_mul_lo_u16 v2, 0xcd, v7
	v_mul_i32_i24_e32 v42, 10, v22
	v_pk_add_f16 v82, v15, v10
	v_pack_b32_f16 v1, v13, v68
	v_pack_b32_f16 v4, v12, v36
	v_lshrrev_b16 v2, 11, v2
	v_lshl_add_u32 v42, v42, 2, 0
	v_pack_b32_f16 v3, v16, v69
	v_pk_add_f16 v5, v15, v10 neg_lo:[0,1] neg_hi:[0,1]
	v_pack_b32_f16 v6, v18, v37
	v_mul_lo_u16 v12, v2, 10
	v_pack_b32_f16 v7, v34, v73
	v_pack_b32_f16 v8, v70, v74
	;; [unrolled: 1-line block ×4, first 2 shown]
	ds_store_2addr_b32 v42, v82, v1 offset1:1
	ds_store_2addr_b32 v42, v4, v3 offset0:2 offset1:3
	ds_store_2addr_b32 v42, v6, v5 offset0:4 offset1:5
	;; [unrolled: 1-line block ×4, first 2 shown]
	v_sub_nc_u16 v1, v20, v12
	v_pk_add_f16 v84, v0, v11
	v_pack_b32_f16 v3, v53, v58
	v_pk_add_f16 v0, v0, v11 neg_lo:[0,1] neg_hi:[0,1]
	v_pack_b32_f16 v4, v54, v59
	v_and_b32_e32 v1, 0xff, v1
	v_pack_b32_f16 v5, v52, v56
	v_pack_b32_f16 v6, v55, v57
	;; [unrolled: 1-line block ×4, first 2 shown]
	v_mul_u32_u24_e32 v11, 9, v1
	v_pack_b32_f16 v9, v63, v67
	v_pack_b32_f16 v10, v60, v66
	ds_store_2addr_b32 v25, v84, v3 offset1:1
	ds_store_2addr_b32 v25, v5, v4 offset0:2 offset1:3
	ds_store_2addr_b32 v25, v6, v0 offset0:4 offset1:5
	;; [unrolled: 1-line block ×3, first 2 shown]
	v_and_b32_e32 v0, 0xff, v22
	v_lshlrev_b32_e32 v7, 2, v11
	v_and_b32_e32 v2, 0xffff, v2
	ds_store_2addr_b32 v25, v10, v9 offset0:8 offset1:9
	s_waitcnt lgkmcnt(0)
	s_barrier
	buffer_gl0_inv
	s_clause 0x1
	global_load_b128 v[8:11], v7, s[4:5]
	global_load_b128 v[14:17], v7, s[4:5] offset:16
	v_mul_lo_u16 v3, 0xcd, v0
	v_mul_u32_u24_e32 v2, 0x190, v2
	v_lshlrev_b32_e32 v1, 2, v1
	v_mul_lo_u16 v0, v0, 41
	s_delay_alu instid0(VALU_DEP_4) | instskip(NEXT) | instid1(VALU_DEP_3)
	v_lshrrev_b16 v4, 11, v3
	v_add3_u32 v1, 0, v2, v1
	s_delay_alu instid0(VALU_DEP_2) | instskip(SKIP_1) | instid1(VALU_DEP_2)
	v_mul_lo_u16 v3, v4, 10
	v_and_b32_e32 v4, 0xffff, v4
	v_sub_nc_u16 v3, v22, v3
	s_delay_alu instid0(VALU_DEP_1) | instskip(NEXT) | instid1(VALU_DEP_1)
	v_and_b32_e32 v3, 0xff, v3
	v_mul_u32_u24_e32 v5, 9, v3
	v_lshlrev_b32_e32 v3, 2, v3
	s_delay_alu instid0(VALU_DEP_2)
	v_lshlrev_b32_e32 v12, 2, v5
	v_and_b32_e32 v5, 0xffff, v30
	s_clause 0x1
	global_load_b128 v[31:34], v12, s[4:5]
	global_load_b128 v[53:56], v12, s[4:5] offset:16
	v_mul_u32_u24_e32 v5, 0xcccd, v5
	s_delay_alu instid0(VALU_DEP_1) | instskip(NEXT) | instid1(VALU_DEP_1)
	v_lshrrev_b32_e32 v5, 19, v5
	v_mul_lo_u16 v6, v5, 10
	s_delay_alu instid0(VALU_DEP_1) | instskip(NEXT) | instid1(VALU_DEP_1)
	v_sub_nc_u16 v6, v30, v6
	v_and_b32_e32 v6, 0xffff, v6
	s_delay_alu instid0(VALU_DEP_1) | instskip(NEXT) | instid1(VALU_DEP_1)
	v_mul_u32_u24_e32 v13, 9, v6
	v_lshlrev_b32_e32 v13, 2, v13
	s_clause 0x4
	global_load_b128 v[57:60], v13, s[4:5]
	global_load_b128 v[61:64], v13, s[4:5] offset:16
	global_load_b32 v18, v7, s[4:5] offset:32
	global_load_b32 v85, v12, s[4:5] offset:32
	;; [unrolled: 1-line block ×3, first 2 shown]
	ds_load_2addr_b32 v[35:36], v51 offset0:80 offset1:200
	ds_load_2addr_b32 v[69:70], v45 offset0:64 offset1:184
	;; [unrolled: 1-line block ×4, first 2 shown]
	v_lshl_add_u32 v43, v29, 2, 0
	ds_load_2addr_b32 v[37:38], v38 offset0:112 offset1:232
	ds_load_2addr_b32 v[78:79], v44 offset0:96 offset1:216
	;; [unrolled: 1-line block ×3, first 2 shown]
	ds_load_b32 v12, v43
	ds_load_2addr_b32 v[81:82], v49 offset0:96 offset1:216
	v_mad_i32_i24 v45, 0xffffffdc, v22, v42
	v_mad_i32_i24 v44, 0xffffffdc, v30, v25
	ds_load_b32 v13, v45
	ds_load_b32 v7, v44
	ds_load_2addr_b32 v[83:84], v48 offset0:48 offset1:168
	ds_load_b32 v52, v41
	s_waitcnt lgkmcnt(12)
	v_lshrrev_b32_e32 v40, 16, v35
	s_waitcnt lgkmcnt(11)
	v_lshrrev_b32_e32 v49, 16, v70
	;; [unrolled: 2-line block ×6, first 2 shown]
	v_lshrrev_b32_e32 v74, 16, v79
	v_lshrrev_b32_e32 v77, 16, v75
	;; [unrolled: 1-line block ×3, first 2 shown]
	s_waitcnt lgkmcnt(4)
	v_lshrrev_b32_e32 v86, 16, v81
	s_waitcnt vmcnt(8)
	v_lshrrev_b32_e32 v50, 16, v8
	v_lshrrev_b32_e32 v48, 16, v9
	;; [unrolled: 1-line block ×4, first 2 shown]
	s_delay_alu instid0(VALU_DEP_4) | instskip(SKIP_2) | instid1(VALU_DEP_3)
	v_mul_f16_e32 v88, v50, v80
	v_mul_f16_e32 v51, v50, v12
	v_mul_f16_e32 v91, v40, v48
	v_fma_f16 v50, v8, v12, -v88
	v_mul_f16_e32 v88, v35, v48
	s_delay_alu instid0(VALU_DEP_4)
	v_fmac_f16_e32 v51, v8, v80
	v_mul_f16_e32 v8, v49, v89
	v_fma_f16 v91, v35, v9, -v91
	v_mul_f16_e32 v89, v70, v89
	v_fmac_f16_e32 v88, v40, v9
	v_mul_f16_e32 v9, v67, v90
	v_fma_f16 v40, v70, v10, -v8
	v_mul_f16_e32 v90, v65, v90
	s_waitcnt vmcnt(7)
	v_lshrrev_b32_e32 v8, 16, v14
	v_fmac_f16_e32 v89, v49, v10
	v_fma_f16 v92, v65, v11, -v9
	v_lshrrev_b32_e32 v9, 16, v15
	v_fmac_f16_e32 v90, v67, v11
	v_lshrrev_b32_e32 v10, 16, v16
	v_mul_f16_e32 v11, v68, v8
	v_mul_f16_e32 v93, v73, v8
	;; [unrolled: 1-line block ×3, first 2 shown]
	v_lshrrev_b32_e32 v12, 16, v17
	v_mul_f16_e32 v94, v37, v9
	v_mul_f16_e32 v97, v79, v10
	v_fma_f16 v95, v73, v14, -v11
	v_fma_f16 v96, v37, v15, -v8
	v_mul_f16_e32 v8, v74, v10
	v_mul_f16_e32 v9, v77, v12
	;; [unrolled: 1-line block ×3, first 2 shown]
	v_fmac_f16_e32 v93, v68, v14
	v_fmac_f16_e32 v94, v71, v15
	v_fma_f16 v99, v79, v16, -v8
	s_waitcnt vmcnt(6)
	v_lshrrev_b32_e32 v8, 16, v32
	v_fmac_f16_e32 v97, v74, v16
	v_fma_f16 v100, v75, v17, -v9
	v_fmac_f16_e32 v98, v77, v17
	v_lshrrev_b32_e32 v12, 16, v66
	v_mul_f16_e32 v10, v87, v8
	v_lshrrev_b32_e32 v14, 16, v34
	v_lshrrev_b32_e32 v15, 16, v33
	ds_load_2addr_b32 v[16:17], v47 offset0:80 offset1:200
	v_lshrrev_b32_e32 v9, 16, v31
	v_fma_f16 v79, v36, v32, -v10
	ds_load_2addr_b32 v[10:11], v23 offset0:128 offset1:248
	v_mul_f16_e32 v73, v36, v8
	v_mul_f16_e32 v8, v12, v14
	s_waitcnt lgkmcnt(3)
	v_lshrrev_b32_e32 v35, 16, v83
	v_mul_f16_e32 v65, v83, v15
	v_mul_f16_e32 v48, v81, v9
	;; [unrolled: 1-line block ×3, first 2 shown]
	v_fma_f16 v77, v66, v34, -v8
	v_mul_f16_e32 v74, v66, v14
	v_fmac_f16_e32 v73, v87, v32
	v_lshrrev_b32_e32 v8, 16, v38
	v_mul_f16_e32 v14, v35, v15
	s_waitcnt vmcnt(5)
	v_lshrrev_b32_e32 v15, 16, v54
	v_fmac_f16_e32 v65, v35, v33
	v_lshrrev_b32_e32 v32, 16, v76
	v_lshrrev_b32_e32 v35, 16, v56
	v_fmac_f16_e32 v74, v12, v34
	v_mul_f16_e32 v12, v8, v15
	v_fma_f16 v49, v81, v31, -v9
	v_fma_f16 v68, v83, v33, -v14
	v_mul_f16_e32 v9, v32, v35
	v_lshrrev_b32_e32 v14, 16, v53
	v_fma_f16 v80, v38, v54, -v12
	v_mul_f16_e32 v75, v38, v15
	s_waitcnt lgkmcnt(0)
	v_lshrrev_b32_e32 v12, 16, v10
	v_fma_f16 v81, v76, v56, -v9
	v_mul_f16_e32 v67, v10, v14
	v_lshrrev_b32_e32 v9, 16, v55
	v_lshrrev_b32_e32 v15, 16, v16
	v_fmac_f16_e32 v48, v86, v31
	v_mul_f16_e32 v76, v76, v35
	v_mul_f16_e32 v14, v12, v14
	v_fmac_f16_e32 v67, v12, v53
	v_fmac_f16_e32 v75, v8, v54
	v_mul_f16_e32 v66, v16, v9
	v_mul_f16_e32 v8, v15, v9
	v_lshrrev_b32_e32 v12, 16, v82
	s_waitcnt vmcnt(4)
	v_lshrrev_b32_e32 v9, 16, v57
	v_lshrrev_b32_e32 v33, 16, v69
	;; [unrolled: 1-line block ×3, first 2 shown]
	v_fmac_f16_e32 v76, v32, v56
	v_fma_f16 v70, v10, v53, -v14
	v_mul_f16_e32 v10, v12, v9
	v_lshrrev_b32_e32 v32, 16, v84
	v_mul_f16_e32 v14, v33, v31
	v_lshrrev_b32_e32 v35, 16, v59
	ds_load_2addr_b32 v[53:54], v19 offset0:48 offset1:168
	v_fma_f16 v71, v16, v55, -v8
	v_fma_f16 v8, v82, v57, -v10
	v_mul_f16_e32 v9, v82, v9
	v_fma_f16 v34, v69, v58, -v14
	v_mul_f16_e32 v10, v32, v35
	v_lshrrev_b32_e32 v14, 16, v72
	v_lshrrev_b32_e32 v16, 16, v60
	ds_load_2addr_b32 v[46:47], v46 offset0:32 offset1:152
	v_fmac_f16_e32 v66, v15, v55
	v_mul_f16_e32 v31, v69, v31
	v_fmac_f16_e32 v9, v12, v57
	v_fma_f16 v15, v84, v59, -v10
	v_mul_f16_e32 v10, v84, v35
	v_mul_f16_e32 v12, v14, v16
	v_lshrrev_b32_e32 v38, 16, v11
	v_mul_f16_e32 v19, v72, v16
	s_waitcnt vmcnt(3)
	v_lshrrev_b32_e32 v16, 16, v61
	v_fmac_f16_e32 v31, v33, v58
	v_fma_f16 v33, v72, v60, -v12
	v_lshrrev_b32_e32 v55, 16, v78
	v_fmac_f16_e32 v10, v32, v59
	v_lshrrev_b32_e32 v32, 16, v62
	v_mul_f16_e32 v12, v38, v16
	v_lshrrev_b32_e32 v56, 16, v17
	v_lshrrev_b32_e32 v35, 16, v63
	v_fmac_f16_e32 v19, v14, v60
	v_mul_f16_e32 v36, v55, v32
	v_fma_f16 v14, v11, v61, -v12
	v_mul_f16_e32 v12, v11, v16
	s_waitcnt vmcnt(2)
	v_lshrrev_b32_e32 v37, 16, v18
	v_mul_f16_e32 v11, v56, v35
	s_waitcnt lgkmcnt(1)
	v_lshrrev_b32_e32 v57, 16, v54
	v_fma_f16 v36, v78, v62, -v36
	v_mul_f16_e32 v32, v78, v32
	v_lshrrev_b32_e32 v58, 16, v53
	v_lshrrev_b32_e32 v59, 16, v64
	v_fma_f16 v16, v17, v63, -v11
	v_mul_f16_e32 v11, v17, v35
	v_mul_f16_e32 v60, v54, v37
	;; [unrolled: 1-line block ×3, first 2 shown]
	s_waitcnt vmcnt(1)
	v_lshrrev_b32_e32 v72, 16, v85
	s_waitcnt lgkmcnt(0)
	v_lshrrev_b32_e32 v78, 16, v46
	v_mul_f16_e32 v35, v58, v59
	v_fmac_f16_e32 v60, v57, v18
	v_fma_f16 v54, v54, v18, -v17
	v_lshrrev_b32_e32 v57, 16, v47
	v_mul_f16_e32 v17, v78, v72
	s_waitcnt vmcnt(0)
	v_lshrrev_b32_e32 v82, 16, v39
	v_fmac_f16_e32 v12, v38, v61
	v_add_f16_e32 v38, v92, v96
	v_fma_f16 v37, v53, v64, -v35
	v_mul_f16_e32 v69, v46, v72
	v_mul_f16_e32 v35, v53, v59
	v_fma_f16 v72, v46, v85, -v17
	v_mul_f16_e32 v17, v57, v82
	v_fmac_f16_e32 v32, v55, v62
	v_add_f16_e32 v46, v52, v91
	v_fma_f16 v59, -0.5, v38, v52
	v_sub_f16_e32 v38, v88, v98
	v_sub_f16_e32 v53, v91, v92
	;; [unrolled: 1-line block ×3, first 2 shown]
	v_fmac_f16_e32 v35, v58, v64
	v_fma_f16 v18, v47, v39, -v17
	v_mul_f16_e32 v17, v47, v82
	v_add_f16_e32 v46, v46, v92
	v_fmamk_f16 v58, v38, 0x3b9c, v59
	v_sub_f16_e32 v47, v90, v94
	v_add_f16_e32 v53, v53, v55
	v_fmac_f16_e32 v59, 0xbb9c, v38
	v_add_f16_e32 v55, v91, v100
	v_lshrrev_b32_e32 v62, 16, v52
	v_add_f16_e32 v46, v46, v96
	v_fmac_f16_e32 v58, 0x38b4, v47
	v_fmac_f16_e32 v59, 0xb8b4, v47
	v_fmac_f16_e32 v52, -0.5, v55
	v_fmac_f16_e32 v11, v56, v63
	v_fmac_f16_e32 v17, v57, v39
	v_add_f16_e32 v56, v46, v100
	v_fmac_f16_e32 v58, 0x34f2, v53
	v_fmac_f16_e32 v59, 0x34f2, v53
	v_fmamk_f16 v61, v47, 0xbb9c, v52
	v_add_f16_e32 v39, v90, v94
	v_sub_f16_e32 v46, v92, v91
	v_sub_f16_e32 v53, v96, v100
	v_add_f16_e32 v57, v62, v88
	v_fmac_f16_e32 v52, 0x3b9c, v47
	v_fma_f16 v63, -0.5, v39, v62
	v_fmac_f16_e32 v61, 0x38b4, v38
	v_add_f16_e32 v39, v46, v53
	v_add_f16_e32 v46, v57, v90
	v_fmac_f16_e32 v52, 0xb8b4, v38
	v_add_f16_e32 v38, v88, v98
	v_sub_f16_e32 v47, v92, v96
	v_sub_f16_e32 v55, v91, v100
	v_add_f16_e32 v46, v46, v94
	v_fmac_f16_e32 v61, 0x34f2, v39
	v_fmac_f16_e32 v62, -0.5, v38
	v_fmac_f16_e32 v52, 0x34f2, v39
	v_sub_f16_e32 v38, v90, v88
	v_add_f16_e32 v64, v46, v98
	v_sub_f16_e32 v39, v94, v98
	v_fmamk_f16 v83, v47, 0x3b9c, v62
	v_fmac_f16_e32 v62, 0xbb9c, v47
	v_add_f16_e32 v46, v50, v40
	v_fmamk_f16 v82, v55, 0xbb9c, v63
	v_sub_f16_e32 v53, v88, v90
	v_sub_f16_e32 v57, v98, v94
	v_fmac_f16_e32 v63, 0x3b9c, v55
	v_fmac_f16_e32 v83, 0xb8b4, v55
	v_add_f16_e32 v38, v38, v39
	v_fmac_f16_e32 v62, 0x38b4, v55
	v_add_f16_e32 v39, v46, v95
	v_add_f16_e32 v46, v95, v99
	v_fmac_f16_e32 v82, 0xb8b4, v47
	v_add_f16_e32 v53, v53, v57
	v_fmac_f16_e32 v63, 0x38b4, v47
	v_fmac_f16_e32 v83, 0x34f2, v38
	;; [unrolled: 1-line block ×3, first 2 shown]
	v_add_f16_e32 v38, v39, v99
	v_fma_f16 v55, -0.5, v46, v50
	v_add_f16_e32 v39, v40, v54
	v_sub_f16_e32 v46, v89, v60
	v_fmac_f16_e32 v82, 0x34f2, v53
	v_fmac_f16_e32 v63, 0x34f2, v53
	v_sub_f16_e32 v47, v93, v97
	v_sub_f16_e32 v53, v40, v95
	;; [unrolled: 1-line block ×3, first 2 shown]
	v_fmac_f16_e32 v50, -0.5, v39
	v_fmamk_f16 v84, v46, 0x3b9c, v55
	v_fmac_f16_e32 v55, 0xbb9c, v46
	v_fmac_f16_e32 v69, v78, v85
	v_sub_f16_e32 v39, v95, v40
	v_sub_f16_e32 v78, v99, v54
	v_add_f16_e32 v53, v53, v57
	v_fmamk_f16 v57, v47, 0xbb9c, v50
	v_fmac_f16_e32 v84, 0x38b4, v47
	v_fmac_f16_e32 v55, 0xb8b4, v47
	v_add_f16_e32 v85, v38, v54
	v_fmac_f16_e32 v50, 0x3b9c, v47
	v_add_f16_e32 v38, v93, v97
	v_add_f16_e32 v39, v39, v78
	v_fmac_f16_e32 v57, 0x38b4, v46
	v_fmac_f16_e32 v84, 0x34f2, v53
	;; [unrolled: 1-line block ×4, first 2 shown]
	v_add_f16_e32 v46, v51, v89
	v_add_f16_e32 v47, v89, v60
	v_fma_f16 v53, -0.5, v38, v51
	v_sub_f16_e32 v38, v40, v54
	v_fmac_f16_e32 v57, 0x34f2, v39
	v_fmac_f16_e32 v50, 0x34f2, v39
	v_sub_f16_e32 v39, v95, v99
	v_fmac_f16_e32 v51, -0.5, v47
	v_add_f16_e32 v40, v46, v93
	v_fmamk_f16 v47, v38, 0xbb9c, v53
	v_sub_f16_e32 v46, v89, v93
	v_sub_f16_e32 v54, v60, v97
	v_fmamk_f16 v86, v39, 0x3b9c, v51
	v_sub_f16_e32 v87, v93, v89
	v_sub_f16_e32 v88, v97, v60
	v_fmac_f16_e32 v47, 0xb8b4, v39
	v_add_f16_e32 v46, v46, v54
	v_fmac_f16_e32 v51, 0xbb9c, v39
	v_fmac_f16_e32 v53, 0x3b9c, v38
	;; [unrolled: 1-line block ×3, first 2 shown]
	v_add_f16_e32 v54, v87, v88
	v_fmac_f16_e32 v47, 0x34f2, v46
	v_fmac_f16_e32 v51, 0x38b4, v38
	;; [unrolled: 1-line block ×3, first 2 shown]
	v_mul_f16_e32 v39, 0x34f2, v50
	v_fmac_f16_e32 v86, 0x34f2, v54
	v_mul_f16_e32 v87, 0x38b4, v47
	v_fmac_f16_e32 v51, 0x34f2, v54
	v_add_f16_e32 v40, v40, v97
	v_fmac_f16_e32 v53, 0x34f2, v46
	v_mul_f16_e32 v88, 0x3b9c, v86
	v_fmac_f16_e32 v87, 0x3a79, v84
	v_fma_f16 v89, v51, 0x3b9c, -v39
	v_mul_f16_e32 v84, 0xb8b4, v84
	v_mul_f16_e32 v91, 0xbb9c, v57
	;; [unrolled: 1-line block ×3, first 2 shown]
	v_add_f16_e32 v60, v40, v60
	v_add_f16_e32 v38, v56, v85
	v_fmac_f16_e32 v88, 0x34f2, v57
	v_mul_f16_e32 v46, 0x3a79, v55
	v_fmac_f16_e32 v84, 0x3a79, v47
	v_mul_f16_e32 v57, 0x3a79, v53
	v_fmac_f16_e32 v91, 0x34f2, v86
	v_fma_f16 v86, v50, 0xbb9c, -v51
	v_sub_f16_e32 v56, v56, v85
	v_add_f16_e32 v85, v77, v80
	v_add_f16_e32 v40, v61, v88
	v_fma_f16 v90, v53, 0x38b4, -v46
	v_add_f16_e32 v53, v64, v60
	v_add_f16_e32 v54, v82, v84
	v_fma_f16 v92, v55, 0xb8b4, -v57
	v_add_f16_e32 v57, v62, v86
	v_sub_f16_e32 v51, v61, v88
	v_add_f16_e32 v61, v13, v79
	v_sub_f16_e32 v64, v64, v60
	v_sub_f16_e32 v60, v82, v84
	v_fma_f16 v84, -0.5, v85, v13
	v_sub_f16_e32 v85, v73, v76
	v_sub_f16_e32 v62, v62, v86
	v_add_f16_e32 v86, v79, v81
	v_lshrrev_b32_e32 v78, 16, v13
	v_add_f16_e32 v39, v58, v87
	v_add_f16_e32 v46, v52, v89
	;; [unrolled: 1-line block ×3, first 2 shown]
	v_sub_f16_e32 v50, v58, v87
	v_sub_f16_e32 v52, v52, v89
	v_add_f16_e32 v82, v61, v77
	v_sub_f16_e32 v61, v83, v91
	v_fmamk_f16 v83, v85, 0x3b9c, v84
	v_sub_f16_e32 v87, v74, v75
	v_sub_f16_e32 v88, v79, v77
	v_sub_f16_e32 v89, v81, v80
	v_fmac_f16_e32 v84, 0xbb9c, v85
	v_fmac_f16_e32 v13, -0.5, v86
	v_fmac_f16_e32 v83, 0x38b4, v87
	v_add_f16_e32 v47, v59, v90
	v_add_f16_e32 v86, v88, v89
	v_fmac_f16_e32 v84, 0xb8b4, v87
	v_fmamk_f16 v88, v87, 0xbb9c, v13
	v_sub_f16_e32 v89, v77, v79
	v_fmac_f16_e32 v13, 0x3b9c, v87
	v_sub_f16_e32 v87, v80, v81
	v_fmac_f16_e32 v83, 0x34f2, v86
	v_fmac_f16_e32 v84, 0x34f2, v86
	v_sub_f16_e32 v59, v59, v90
	v_add_f16_e32 v82, v82, v80
	v_add_f16_e32 v86, v89, v87
	;; [unrolled: 1-line block ×4, first 2 shown]
	v_sub_f16_e32 v77, v77, v80
	v_add_f16_e32 v80, v73, v76
	v_fmac_f16_e32 v88, 0x38b4, v85
	v_add_f16_e32 v87, v87, v74
	v_fma_f16 v89, -0.5, v90, v78
	v_fmac_f16_e32 v13, 0xb8b4, v85
	v_fmac_f16_e32 v78, -0.5, v80
	v_add_f16_e32 v82, v82, v81
	v_add_f16_e32 v85, v87, v75
	v_sub_f16_e32 v79, v79, v81
	v_sub_f16_e32 v81, v73, v74
	;; [unrolled: 1-line block ×4, first 2 shown]
	v_add_f16_e32 v80, v85, v76
	v_fmamk_f16 v85, v77, 0x3b9c, v78
	v_fmac_f16_e32 v78, 0xbb9c, v77
	v_sub_f16_e32 v90, v76, v75
	v_fmamk_f16 v91, v79, 0xbb9c, v89
	v_fmac_f16_e32 v89, 0x3b9c, v79
	v_fmac_f16_e32 v85, 0xb8b4, v79
	v_add_f16_e32 v73, v73, v74
	v_fmac_f16_e32 v78, 0x38b4, v79
	v_add_f16_e32 v74, v49, v68
	v_add_f16_e32 v81, v81, v90
	v_fmac_f16_e32 v91, 0xb8b4, v77
	v_fmac_f16_e32 v89, 0x38b4, v77
	v_add_f16_e32 v75, v70, v71
	v_fmac_f16_e32 v85, 0x34f2, v73
	v_fmac_f16_e32 v78, 0x34f2, v73
	v_add_f16_e32 v73, v74, v70
	v_add_f16_e32 v74, v68, v72
	v_fmac_f16_e32 v88, 0x34f2, v86
	v_fmac_f16_e32 v13, 0x34f2, v86
	;; [unrolled: 1-line block ×3, first 2 shown]
	v_fma_f16 v75, -0.5, v75, v49
	v_sub_f16_e32 v76, v65, v69
	v_fmac_f16_e32 v89, 0x34f2, v81
	v_sub_f16_e32 v79, v67, v66
	v_sub_f16_e32 v81, v68, v70
	;; [unrolled: 1-line block ×3, first 2 shown]
	v_fmac_f16_e32 v49, -0.5, v74
	v_fmamk_f16 v77, v76, 0x3b9c, v75
	v_fmac_f16_e32 v75, 0xbb9c, v76
	v_add_f16_e32 v73, v73, v71
	v_add_f16_e32 v74, v81, v86
	v_fmamk_f16 v81, v79, 0xbb9c, v49
	v_sub_f16_e32 v86, v70, v68
	v_sub_f16_e32 v87, v71, v72
	v_fmac_f16_e32 v49, 0x3b9c, v79
	v_fmac_f16_e32 v77, 0x38b4, v79
	;; [unrolled: 1-line block ×3, first 2 shown]
	v_add_f16_e32 v79, v73, v72
	v_fmac_f16_e32 v81, 0x38b4, v76
	v_add_f16_e32 v73, v86, v87
	v_fmac_f16_e32 v49, 0xb8b4, v76
	v_fmac_f16_e32 v77, 0x34f2, v74
	v_fmac_f16_e32 v75, 0x34f2, v74
	v_add_f16_e32 v74, v67, v66
	v_fmac_f16_e32 v81, 0x34f2, v73
	v_fmac_f16_e32 v49, 0x34f2, v73
	v_add_f16_e32 v73, v65, v69
	v_add_f16_e32 v76, v48, v65
	v_fma_f16 v74, -0.5, v74, v48
	v_sub_f16_e32 v70, v70, v71
	v_sub_f16_e32 v68, v68, v72
	v_fmac_f16_e32 v48, -0.5, v73
	v_add_f16_e32 v71, v76, v67
	v_sub_f16_e32 v72, v65, v67
	v_sub_f16_e32 v67, v67, v65
	;; [unrolled: 1-line block ×3, first 2 shown]
	v_fmamk_f16 v86, v70, 0x3b9c, v48
	v_sub_f16_e32 v73, v69, v66
	v_fmamk_f16 v76, v68, 0xbb9c, v74
	v_fmac_f16_e32 v74, 0x3b9c, v68
	v_add_f16_e32 v67, v67, v87
	v_fmac_f16_e32 v86, 0xb8b4, v68
	v_add_f16_e32 v72, v72, v73
	v_fmac_f16_e32 v76, 0xb8b4, v70
	v_fmac_f16_e32 v48, 0xbb9c, v70
	;; [unrolled: 1-line block ×4, first 2 shown]
	v_add_f16_e32 v66, v71, v66
	v_fmac_f16_e32 v76, 0x34f2, v72
	v_fmac_f16_e32 v48, 0x38b4, v68
	;; [unrolled: 1-line block ×3, first 2 shown]
	v_mul_f16_e32 v90, 0x3b9c, v86
	v_mul_f16_e32 v71, 0x3a79, v75
	;; [unrolled: 1-line block ×3, first 2 shown]
	v_fmac_f16_e32 v48, 0x34f2, v67
	v_mul_f16_e32 v72, 0x3a79, v74
	v_fmac_f16_e32 v90, 0x34f2, v81
	v_mul_f16_e32 v81, 0xbb9c, v81
	v_add_f16_e32 v87, v66, v69
	v_fmac_f16_e32 v70, 0x3a79, v77
	v_add_f16_e32 v66, v82, v79
	v_mul_f16_e32 v69, 0x34f2, v49
	v_mul_f16_e32 v77, 0xb8b4, v77
	v_fma_f16 v93, v74, 0x38b4, -v71
	v_mul_f16_e32 v71, 0x34f2, v48
	v_fmac_f16_e32 v81, 0x34f2, v86
	v_fma_f16 v94, v75, 0xb8b4, -v72
	v_sub_f16_e32 v72, v82, v79
	v_add_f16_e32 v79, v33, v36
	v_add_f16_e32 v58, v63, v92
	v_sub_f16_e32 v63, v63, v92
	v_add_f16_e32 v67, v83, v70
	v_fma_f16 v92, v48, 0x3b9c, -v69
	v_fmac_f16_e32 v77, 0x3a79, v76
	v_add_f16_e32 v69, v84, v93
	v_fma_f16 v86, v49, 0xbb9c, -v71
	v_add_f16_e32 v74, v85, v81
	v_sub_f16_e32 v49, v83, v70
	v_sub_f16_e32 v76, v84, v93
	v_fma_f16 v82, -0.5, v79, v7
	v_sub_f16_e32 v83, v31, v35
	v_sub_f16_e32 v79, v85, v81
	;; [unrolled: 1-line block ×4, first 2 shown]
	v_add_f16_e32 v71, v80, v87
	v_add_f16_e32 v75, v78, v86
	v_sub_f16_e32 v80, v80, v87
	v_sub_f16_e32 v78, v78, v86
	v_fmamk_f16 v85, v83, 0x3b9c, v82
	v_sub_f16_e32 v86, v19, v32
	v_fmac_f16_e32 v82, 0xbb9c, v83
	v_add_f16_e32 v87, v34, v37
	v_add_f16_e32 v81, v81, v84
	;; [unrolled: 1-line block ×3, first 2 shown]
	v_lshrrev_b32_e32 v65, 16, v7
	v_fmac_f16_e32 v85, 0x38b4, v86
	v_fmac_f16_e32 v82, 0xb8b4, v86
	v_fmac_f16_e32 v7, -0.5, v87
	v_add_f16_e32 v84, v84, v33
	v_add_f16_e32 v68, v88, v90
	v_sub_f16_e32 v70, v88, v90
	v_fmac_f16_e32 v85, 0x34f2, v81
	v_fmac_f16_e32 v82, 0x34f2, v81
	v_fmamk_f16 v81, v86, 0xbb9c, v7
	v_fmac_f16_e32 v7, 0x3b9c, v86
	v_add_f16_e32 v84, v84, v36
	v_add_f16_e32 v90, v65, v31
	;; [unrolled: 1-line block ×3, first 2 shown]
	v_sub_f16_e32 v77, v91, v77
	v_add_f16_e32 v87, v89, v94
	v_sub_f16_e32 v88, v89, v94
	v_sub_f16_e32 v89, v33, v34
	;; [unrolled: 1-line block ×3, first 2 shown]
	v_fmac_f16_e32 v81, 0x38b4, v83
	v_add_f16_e32 v91, v19, v32
	v_fmac_f16_e32 v7, 0xb8b4, v83
	v_add_f16_e32 v83, v84, v37
	v_add_f16_e32 v84, v90, v19
	v_sub_f16_e32 v34, v34, v37
	v_add_f16_e32 v37, v31, v35
	v_add_f16_e32 v86, v89, v86
	v_fma_f16 v89, -0.5, v91, v65
	v_add_f16_e32 v84, v84, v32
	v_sub_f16_e32 v33, v33, v36
	v_fmac_f16_e32 v65, -0.5, v37
	v_fmac_f16_e32 v81, 0x34f2, v86
	v_fmac_f16_e32 v7, 0x34f2, v86
	v_fmamk_f16 v86, v34, 0xbb9c, v89
	v_sub_f16_e32 v36, v31, v19
	v_sub_f16_e32 v90, v35, v32
	v_fmac_f16_e32 v89, 0x3b9c, v34
	v_add_f16_e32 v37, v84, v35
	v_fmamk_f16 v84, v33, 0x3b9c, v65
	v_sub_f16_e32 v19, v19, v31
	v_sub_f16_e32 v31, v32, v35
	v_add_f16_e32 v32, v14, v16
	v_fmac_f16_e32 v65, 0xbb9c, v33
	v_fmac_f16_e32 v86, 0xb8b4, v33
	v_add_f16_e32 v36, v36, v90
	v_fmac_f16_e32 v89, 0x38b4, v33
	v_fmac_f16_e32 v84, 0xb8b4, v34
	v_add_f16_e32 v19, v19, v31
	v_fma_f16 v31, -0.5, v32, v8
	v_sub_f16_e32 v33, v10, v17
	v_fmac_f16_e32 v65, 0x38b4, v34
	v_add_f16_e32 v34, v8, v15
	v_fmac_f16_e32 v86, 0x34f2, v36
	v_fmac_f16_e32 v89, 0x34f2, v36
	v_sub_f16_e32 v32, v15, v14
	v_sub_f16_e32 v35, v18, v16
	v_add_f16_e32 v36, v15, v18
	v_fmamk_f16 v90, v33, 0x3b9c, v31
	v_sub_f16_e32 v91, v12, v11
	v_fmac_f16_e32 v31, 0xbb9c, v33
	v_add_f16_e32 v34, v34, v14
	v_add_f16_e32 v32, v32, v35
	v_fmac_f16_e32 v8, -0.5, v36
	v_fmac_f16_e32 v90, 0x38b4, v91
	v_fmac_f16_e32 v31, 0xb8b4, v91
	;; [unrolled: 1-line block ×4, first 2 shown]
	v_add_f16_e32 v19, v34, v16
	v_sub_f16_e32 v35, v14, v15
	v_sub_f16_e32 v36, v16, v18
	v_fmac_f16_e32 v90, 0x34f2, v32
	v_fmamk_f16 v34, v91, 0xbb9c, v8
	v_fmac_f16_e32 v31, 0x34f2, v32
	v_fmac_f16_e32 v8, 0x3b9c, v91
	v_add_f16_e32 v19, v19, v18
	v_add_f16_e32 v32, v35, v36
	;; [unrolled: 1-line block ×3, first 2 shown]
	v_sub_f16_e32 v15, v15, v18
	v_add_f16_e32 v18, v10, v17
	v_fmac_f16_e32 v34, 0x38b4, v33
	v_fmac_f16_e32 v8, 0xb8b4, v33
	v_add_f16_e32 v33, v9, v10
	v_fma_f16 v35, -0.5, v35, v9
	v_sub_f16_e32 v14, v14, v16
	v_fmac_f16_e32 v9, -0.5, v18
	v_sub_f16_e32 v16, v10, v12
	v_sub_f16_e32 v10, v12, v10
	;; [unrolled: 1-line block ×4, first 2 shown]
	v_fmamk_f16 v36, v14, 0x3b9c, v9
	v_fmac_f16_e32 v34, 0x34f2, v32
	v_fmac_f16_e32 v8, 0x34f2, v32
	v_fmamk_f16 v32, v15, 0xbb9c, v35
	v_add_f16_e32 v10, v10, v91
	v_fmac_f16_e32 v36, 0xb8b4, v15
	v_fmac_f16_e32 v35, 0x3b9c, v15
	v_add_f16_e32 v16, v16, v18
	v_fmac_f16_e32 v32, 0xb8b4, v14
	v_fmac_f16_e32 v9, 0xbb9c, v14
	;; [unrolled: 1-line block ×4, first 2 shown]
	v_add_f16_e32 v12, v33, v12
	v_fmac_f16_e32 v32, 0x34f2, v16
	v_fmac_f16_e32 v9, 0x38b4, v15
	v_mul_f16_e32 v14, 0x3b9c, v36
	v_fmac_f16_e32 v35, 0x34f2, v16
	v_mul_f16_e32 v16, 0x3a79, v31
	v_mul_f16_e32 v15, 0x34f2, v8
	v_fmac_f16_e32 v9, 0x34f2, v10
	v_fmac_f16_e32 v14, 0x34f2, v34
	v_mul_f16_e32 v18, 0xb8b4, v90
	v_fma_f16 v16, v35, 0x38b4, -v16
	v_mul_f16_e32 v34, 0xbb9c, v34
	v_mul_f16_e32 v35, 0x3a79, v35
	v_add_f16_e32 v11, v12, v11
	v_fma_f16 v15, v9, 0x3b9c, -v15
	v_fmac_f16_e32 v18, 0x3a79, v32
	v_fmac_f16_e32 v34, 0x34f2, v36
	v_fma_f16 v31, v31, 0xb8b4, -v35
	v_add_f16_e32 v11, v11, v17
	v_mul_f16_e32 v9, 0x34f2, v9
	v_mul_f16_e32 v12, 0x38b4, v32
	v_add_f16_e32 v10, v83, v19
	v_add_f16_e32 v33, v81, v14
	;; [unrolled: 1-line block ×5, first 2 shown]
	v_sub_f16_e32 v19, v83, v19
	v_add_f16_e32 v83, v84, v34
	v_sub_f16_e32 v14, v81, v14
	v_add_f16_e32 v81, v89, v31
	v_sub_f16_e32 v7, v7, v15
	v_sub_f16_e32 v15, v82, v16
	;; [unrolled: 1-line block ×5, first 2 shown]
	v_pack_b32_f16 v2, v38, v53
	v_pack_b32_f16 v31, v39, v54
	v_fma_f16 v8, v8, 0xbb9c, -v9
	v_add_f16_e32 v9, v37, v11
	v_sub_f16_e32 v11, v37, v11
	v_pack_b32_f16 v37, v40, v55
	v_pack_b32_f16 v38, v46, v57
	v_pack_b32_f16 v39, v47, v58
	v_pack_b32_f16 v40, v56, v64
	s_barrier
	buffer_gl0_inv
	ds_store_2addr_b32 v1, v2, v31 offset1:10
	ds_store_2addr_b32 v1, v37, v38 offset0:20 offset1:30
	ds_store_2addr_b32 v1, v39, v40 offset0:40 offset1:50
	v_mul_u32_u24_e32 v2, 0x190, v4
	v_add_f16_e32 v48, v13, v92
	v_fmac_f16_e32 v12, 0x3a79, v90
	v_pack_b32_f16 v4, v50, v60
	v_pack_b32_f16 v31, v51, v61
	;; [unrolled: 1-line block ×4, first 2 shown]
	v_add3_u32 v2, 0, v2, v3
	v_pack_b32_f16 v3, v66, v71
	v_pack_b32_f16 v39, v67, v73
	;; [unrolled: 1-line block ×6, first 2 shown]
	v_add_f16_e32 v17, v85, v12
	ds_store_2addr_b32 v1, v4, v31 offset0:60 offset1:70
	ds_store_2addr_b32 v1, v37, v38 offset0:80 offset1:90
	ds_store_2addr_b32 v2, v3, v39 offset1:10
	ds_store_2addr_b32 v2, v40, v46 offset0:20 offset1:30
	ds_store_2addr_b32 v2, v47, v48 offset0:40 offset1:50
	v_mul_u32_u24_e32 v1, 0x190, v5
	v_lshlrev_b32_e32 v3, 2, v6
	v_sub_f16_e32 v13, v13, v92
	v_sub_f16_e32 v12, v85, v12
	v_add_f16_e32 v85, v65, v8
	v_pack_b32_f16 v4, v49, v77
	v_add3_u32 v3, 0, v1, v3
	v_pack_b32_f16 v1, v10, v9
	v_pack_b32_f16 v9, v17, v35
	v_add_nc_u32_e32 v17, 0xffffff9c, v20
	v_pack_b32_f16 v5, v70, v79
	v_pack_b32_f16 v6, v13, v78
	;; [unrolled: 1-line block ×4, first 2 shown]
	v_cndmask_b32_e64 v61, v17, v20, s0
	v_pack_b32_f16 v31, v32, v85
	ds_store_2addr_b32 v2, v4, v5 offset0:60 offset1:70
	ds_store_2addr_b32 v2, v6, v13 offset0:80 offset1:90
	v_pack_b32_f16 v4, v36, v81
	v_pack_b32_f16 v5, v19, v11
	v_lshrrev_b16 v57, 12, v0
	ds_store_2addr_b32 v3, v1, v9 offset1:10
	ds_store_2addr_b32 v3, v10, v31 offset0:20 offset1:30
	v_mul_i32_i24_e32 v31, 5, v61
	v_mov_b32_e32 v32, 0
	ds_store_2addr_b32 v3, v4, v5 offset0:40 offset1:50
	v_mul_lo_u16 v4, 0x64, v57
	v_lshrrev_b16 v5, 2, v30
	v_sub_f16_e32 v8, v65, v8
	v_lshlrev_b64 v[1:2], 2, v[31:32]
	v_pack_b32_f16 v6, v12, v16
	v_sub_nc_u16 v4, v22, v4
	v_and_b32_e32 v5, 0xffff, v5
	v_pack_b32_f16 v9, v14, v18
	v_pack_b32_f16 v7, v7, v8
	v_add_co_u32 v33, s0, s4, v1
	v_pack_b32_f16 v8, v15, v34
	v_add_co_ci_u32_e64 v34, s0, s5, v2, s0
	v_and_b32_e32 v59, 0xff, v4
	v_mul_u32_u24_e32 v4, 0x147b, v5
	ds_store_2addr_b32 v3, v6, v9 offset0:60 offset1:70
	ds_store_2addr_b32 v3, v7, v8 offset0:80 offset1:90
	s_waitcnt lgkmcnt(0)
	s_barrier
	buffer_gl0_inv
	global_load_b128 v[0:3], v[33:34], off offset:360
	v_mul_u32_u24_e32 v5, 5, v59
	v_lshrrev_b32_e32 v31, 17, v4
	v_lshrrev_b16 v13, 2, v28
	v_add_nc_u32_e32 v49, 0x800, v41
	v_add_nc_u32_e32 v50, 0x1400, v41
	v_lshlrev_b32_e32 v35, 2, v5
	v_mul_lo_u16 v4, 0x64, v31
	v_lshrrev_b16 v5, 2, v29
	v_add_nc_u32_e32 v51, 0x2600, v41
	v_add_nc_u32_e32 v53, 0x1000, v41
	global_load_b128 v[8:11], v35, s[4:5] offset:360
	v_sub_nc_u16 v4, v30, v4
	v_and_b32_e32 v5, 0xffff, v5
	v_add_nc_u32_e32 v52, 0x2200, v41
	v_add_nc_u32_e32 v47, 0xc00, v41
	;; [unrolled: 1-line block ×3, first 2 shown]
	v_and_b32_e32 v55, 0xffff, v4
	v_mul_u32_u24_e32 v4, 0x147b, v5
	v_lshl_add_u32 v46, v28, 2, 0
	v_cmp_lt_u32_e64 s0, 0x63, v20
	v_and_b32_e32 v57, 0xffff, v57
	v_mul_u32_u24_e32 v5, 5, v55
	v_lshrrev_b32_e32 v54, 17, v4
	v_lshlrev_b32_e32 v59, 2, v59
	s_delay_alu instid0(VALU_DEP_4) | instskip(NEXT) | instid1(VALU_DEP_4)
	v_mul_u32_u24_e32 v57, 0x960, v57
	v_lshlrev_b32_e32 v36, 2, v5
	s_delay_alu instid0(VALU_DEP_4) | instskip(NEXT) | instid1(VALU_DEP_3)
	v_mul_lo_u16 v12, 0x64, v54
	v_add3_u32 v57, 0, v57, v59
	global_load_b128 v[4:7], v36, s[4:5] offset:360
	v_sub_nc_u16 v12, v29, v12
	s_delay_alu instid0(VALU_DEP_1) | instskip(SKIP_1) | instid1(VALU_DEP_2)
	v_and_b32_e32 v56, 0xffff, v12
	v_and_b32_e32 v12, 0xffff, v13
	v_mul_u32_u24_e32 v13, 5, v56
	s_delay_alu instid0(VALU_DEP_2) | instskip(NEXT) | instid1(VALU_DEP_2)
	v_mul_u32_u24_e32 v12, 0x147b, v12
	v_lshlrev_b32_e32 v37, 2, v13
	s_delay_alu instid0(VALU_DEP_2) | instskip(SKIP_2) | instid1(VALU_DEP_1)
	v_lshrrev_b32_e32 v58, 17, v12
	global_load_b128 v[16:19], v37, s[4:5] offset:360
	v_mul_lo_u16 v12, 0x64, v58
	v_sub_nc_u16 v12, v28, v12
	s_delay_alu instid0(VALU_DEP_1) | instskip(NEXT) | instid1(VALU_DEP_1)
	v_and_b32_e32 v60, 0xffff, v12
	v_mul_u32_u24_e32 v12, 5, v60
	s_delay_alu instid0(VALU_DEP_1)
	v_lshlrev_b32_e32 v38, 2, v12
	s_clause 0x5
	global_load_b128 v[12:15], v38, s[4:5] offset:360
	global_load_b32 v68, v[33:34], off offset:376
	global_load_b32 v67, v35, s[4:5] offset:376
	global_load_b32 v66, v36, s[4:5] offset:376
	;; [unrolled: 1-line block ×4, first 2 shown]
	ds_load_2addr_b32 v[74:75], v49 offset0:88 offset1:208
	ds_load_2addr_b32 v[76:77], v23 offset0:8 offset1:128
	;; [unrolled: 1-line block ×8, first 2 shown]
	ds_load_u16 v91, v41 offset:7202
	ds_load_b32 v65, v41 offset:13920
	s_waitcnt lgkmcnt(9)
	v_lshrrev_b32_e32 v71, 16, v74
	s_waitcnt lgkmcnt(7)
	v_lshrrev_b32_e32 v82, 16, v34
	v_lshrrev_b32_e32 v83, 16, v75
	s_waitcnt lgkmcnt(6)
	v_lshrrev_b32_e32 v84, 16, v78
	s_waitcnt lgkmcnt(2)
	v_lshrrev_b32_e32 v94, 16, v36
	v_lshrrev_b32_e32 v85, 16, v77
	;; [unrolled: 1-line block ×7, first 2 shown]
	s_waitcnt vmcnt(9)
	v_lshrrev_b32_e32 v62, 16, v0
	v_lshrrev_b32_e32 v93, 16, v3
	;; [unrolled: 1-line block ×4, first 2 shown]
	s_delay_alu instid0(VALU_DEP_4) | instskip(SKIP_1) | instid1(VALU_DEP_4)
	v_mul_f16_e32 v70, v62, v74
	v_mul_f16_e32 v95, v62, v71
	;; [unrolled: 1-line block ×3, first 2 shown]
	s_delay_alu instid0(VALU_DEP_4)
	v_mul_f16_e32 v72, v92, v76
	v_mul_f16_e32 v96, v69, v94
	v_fmac_f16_e32 v70, v0, v71
	v_mul_f16_e32 v71, v34, v93
	s_waitcnt lgkmcnt(1)
	v_mul_f16_e32 v92, v91, v92
	v_mul_f16_e32 v93, v82, v93
	v_fmac_f16_e32 v73, v1, v94
	v_fmac_f16_e32 v72, v91, v2
	;; [unrolled: 1-line block ×3, first 2 shown]
	s_waitcnt vmcnt(8)
	v_lshrrev_b32_e32 v82, 16, v8
	v_fma_f16 v36, v1, v36, -v96
	v_fma_f16 v2, v2, v76, -v92
	;; [unrolled: 1-line block ×3, first 2 shown]
	v_lshrrev_b32_e32 v3, 16, v9
	v_mul_f16_e32 v1, v83, v82
	v_lshrrev_b32_e32 v76, 16, v10
	v_mul_f16_e32 v82, v75, v82
	;; [unrolled: 2-line block ×3, first 2 shown]
	v_fma_f16 v75, v75, v8, -v1
	v_mul_f16_e32 v1, v84, v3
	v_mul_f16_e32 v3, v85, v76
	v_fmac_f16_e32 v82, v83, v8
	v_mul_f16_e32 v76, v77, v76
	v_mul_f16_e32 v83, v80, v93
	v_fma_f16 v78, v78, v9, -v1
	v_mul_f16_e32 v1, v86, v93
	v_fma_f16 v77, v77, v10, -v3
	s_waitcnt vmcnt(7)
	v_lshrrev_b32_e32 v3, 16, v5
	v_fma_f16 v74, v0, v74, -v95
	v_add_nc_u32_e32 v0, 0x1800, v41
	v_fmac_f16_e32 v76, v85, v10
	v_fma_f16 v80, v80, v11, -v1
	v_fmac_f16_e32 v83, v86, v11
	v_lshrrev_b32_e32 v10, 16, v4
	v_mul_f16_e32 v11, v88, v3
	v_add_nc_u32_e32 v1, 0x2a00, v41
	ds_load_b32 v62, v44
	ds_load_b32 v94, v45
	;; [unrolled: 1-line block ×5, first 2 shown]
	v_fmac_f16_e32 v92, v84, v9
	ds_load_2addr_b32 v[8:9], v0 offset0:24 offset1:144
	v_lshrrev_b32_e32 v84, 16, v7
	v_mul_f16_e32 v85, v39, v10
	v_fma_f16 v86, v79, v5, -v11
	v_mul_f16_e32 v79, v79, v3
	v_lshrrev_b32_e32 v3, 16, v6
	v_mul_f16_e32 v93, v87, v10
	ds_load_2addr_b32 v[10:11], v1 offset0:72 offset1:192
	v_mul_f16_e32 v95, v90, v84
	v_fmac_f16_e32 v85, v87, v4
	v_mul_f16_e32 v87, v37, v3
	v_lshrrev_b32_e32 v91, 16, v40
	v_fmac_f16_e32 v79, v88, v5
	v_fma_f16 v88, v81, v7, -v95
	v_mul_f16_e32 v81, v81, v84
	s_waitcnt vmcnt(6)
	v_lshrrev_b32_e32 v5, 16, v16
	v_mul_f16_e32 v3, v89, v3
	v_fmac_f16_e32 v87, v89, v6
	v_lshrrev_b32_e32 v84, 16, v38
	v_lshrrev_b32_e32 v89, 16, v18
	v_mul_f16_e32 v95, v91, v5
	v_fma_f16 v39, v39, v4, -v93
	v_fma_f16 v37, v37, v6, -v3
	v_lshrrev_b32_e32 v4, 16, v17
	v_mul_f16_e32 v3, v84, v89
	v_fmac_f16_e32 v81, v90, v7
	v_fma_f16 v90, v40, v16, -v95
	v_mul_f16_e32 v40, v40, v5
	s_waitcnt lgkmcnt(1)
	v_lshrrev_b32_e32 v5, 16, v8
	v_fma_f16 v93, v38, v18, -v3
	v_mul_f16_e32 v38, v38, v89
	v_mul_f16_e32 v89, v8, v4
	s_waitcnt lgkmcnt(0)
	v_lshrrev_b32_e32 v6, 16, v10
	v_lshrrev_b32_e32 v7, 16, v19
	v_mul_f16_e32 v4, v5, v4
	v_add_nc_u32_e32 v3, 0x2e00, v41
	v_fmac_f16_e32 v89, v5, v17
	v_fmac_f16_e32 v40, v91, v16
	v_mul_f16_e32 v5, v6, v7
	v_fma_f16 v91, v8, v17, -v4
	v_fmac_f16_e32 v38, v84, v18
	v_lshrrev_b32_e32 v16, 16, v35
	s_waitcnt vmcnt(5)
	v_lshrrev_b32_e32 v18, 16, v12
	v_fma_f16 v95, v10, v19, -v5
	ds_load_2addr_b32 v[4:5], v3 offset0:56 offset1:176
	v_mul_f16_e32 v84, v10, v7
	v_lshrrev_b32_e32 v8, 16, v9
	v_lshrrev_b32_e32 v10, 16, v13
	v_mul_f16_e32 v7, v16, v18
	v_lshrrev_b32_e32 v17, 16, v33
	v_lshrrev_b32_e32 v96, 16, v14
	v_fmac_f16_e32 v84, v6, v19
	v_mul_f16_e32 v6, v8, v10
	v_fma_f16 v99, v35, v12, -v7
	v_mul_f16_e32 v100, v35, v18
	v_mul_f16_e32 v7, v17, v96
	v_lshrrev_b32_e32 v18, 16, v11
	v_lshrrev_b32_e32 v19, 16, v15
	v_fma_f16 v101, v9, v13, -v6
	v_mul_f16_e32 v102, v9, v10
	s_waitcnt vmcnt(4)
	v_lshrrev_b32_e32 v6, 16, v68
	v_fma_f16 v103, v33, v14, -v7
	v_mul_f16_e32 v7, v18, v19
	v_mul_f16_e32 v104, v11, v19
	s_waitcnt lgkmcnt(0)
	v_lshrrev_b32_e32 v9, 16, v4
	v_mul_f16_e32 v10, v4, v6
	v_fmac_f16_e32 v102, v8, v13
	v_fma_f16 v105, v11, v15, -v7
	v_add_f16_e32 v7, v36, v34
	v_mul_f16_e32 v6, v9, v6
	v_fmac_f16_e32 v10, v9, v68
	v_lshrrev_b32_e32 v9, 16, v98
	v_add_f16_e32 v11, v98, v36
	v_fmac_f16_e32 v98, -0.5, v7
	v_fma_f16 v4, v4, v68, -v6
	v_add_f16_e32 v13, v72, v10
	v_fmac_f16_e32 v100, v16, v12
	v_sub_f16_e32 v12, v73, v71
	v_add_f16_e32 v16, v74, v2
	v_add_f16_e32 v7, v2, v4
	;; [unrolled: 1-line block ×3, first 2 shown]
	v_fmac_f16_e32 v70, -0.5, v13
	v_sub_f16_e32 v2, v2, v4
	v_mul_f16_e32 v96, v33, v96
	v_fmac_f16_e32 v74, -0.5, v7
	v_sub_f16_e32 v7, v72, v10
	v_add_f16_e32 v8, v73, v71
	v_add_f16_e32 v6, v9, v73
	v_fmamk_f16 v13, v12, 0x3aee, v98
	v_fmac_f16_e32 v98, 0xbaee, v12
	v_fmamk_f16 v12, v7, 0x3aee, v74
	v_fmac_f16_e32 v74, 0xbaee, v7
	v_fmamk_f16 v33, v2, 0xbaee, v70
	v_fmac_f16_e32 v70, 0x3aee, v2
	v_add_nc_u32_e32 v2, 0x3200, v41
	v_fmac_f16_e32 v9, -0.5, v8
	v_add_f16_e32 v11, v11, v34
	v_sub_f16_e32 v8, v36, v34
	v_add_f16_e32 v34, v6, v71
	v_mul_f16_e32 v36, -0.5, v74
	v_mul_f16_e32 v68, -0.5, v70
	ds_load_2addr_b32 v[6:7], v2 offset0:40 offset1:160
	v_fmamk_f16 v35, v8, 0xbaee, v9
	v_fmac_f16_e32 v9, 0x3aee, v8
	v_add_f16_e32 v4, v16, v4
	v_add_f16_e32 v10, v19, v10
	v_fmac_f16_e32 v36, 0x3aee, v70
	v_fmac_f16_e32 v68, 0xbaee, v74
	v_lshlrev_b32_e32 v8, 2, v61
	v_cndmask_b32_e64 v16, 0, 0x960, s0
	v_sub_f16_e32 v70, v11, v4
	v_add_f16_e32 v19, v98, v36
	v_add_f16_e32 v61, v9, v68
	v_sub_f16_e32 v71, v34, v10
	v_add3_u32 v8, 0, v16, v8
	v_fmac_f16_e32 v96, v17, v14
	v_fmac_f16_e32 v104, v18, v15
	v_pack_b32_f16 v14, v19, v61
	v_pack_b32_f16 v15, v70, v71
	v_add_nc_u32_e32 v16, 0x200, v8
	v_lshrrev_b32_e32 v17, 16, v5
	s_waitcnt vmcnt(3)
	v_lshrrev_b32_e32 v18, 16, v67
	s_waitcnt vmcnt(0) lgkmcnt(0)
	s_barrier
	buffer_gl0_inv
	ds_store_2addr_b32 v16, v14, v15 offset0:72 offset1:172
	v_mul_f16_e32 v14, v17, v18
	v_mul_f16_e32 v15, v5, v18
	v_lshrrev_b32_e32 v16, 16, v66
	v_lshrrev_b32_e32 v18, 16, v6
	v_lshrrev_b32_e32 v19, 16, v7
	v_lshrrev_b32_e32 v61, 16, v64
	v_fma_f16 v5, v5, v67, -v14
	v_fmac_f16_e32 v15, v17, v67
	v_mul_f16_e32 v14, v6, v16
	v_mul_f16_e32 v16, v18, v16
	;; [unrolled: 1-line block ×3, first 2 shown]
	v_lshrrev_b32_e32 v67, 16, v65
	v_lshrrev_b32_e32 v70, 16, v63
	v_fmac_f16_e32 v14, v18, v66
	v_fma_f16 v16, v6, v66, -v16
	v_mul_f16_e32 v61, v7, v61
	v_fma_f16 v66, v7, v64, -v17
	v_mul_f16_e32 v6, v67, v70
	v_mul_f16_e32 v7, 0x3aee, v33
	;; [unrolled: 1-line block ×4, first 2 shown]
	v_add_f16_e32 v18, v77, v5
	v_fma_f16 v71, v65, v63, -v6
	v_fmac_f16_e32 v7, 0.5, v12
	v_add_f16_e32 v6, v11, v4
	v_fmac_f16_e32 v17, 0.5, v33
	v_add_f16_e32 v4, v78, v80
	v_fmac_f16_e32 v70, v67, v63
	v_add_f16_e32 v11, v13, v7
	v_sub_f16_e32 v67, v13, v7
	v_add_f16_e32 v7, v35, v17
	v_sub_f16_e32 v73, v35, v17
	v_lshrrev_b32_e32 v12, 16, v94
	v_add_f16_e32 v13, v94, v78
	v_fmac_f16_e32 v94, -0.5, v4
	v_sub_f16_e32 v17, v92, v83
	v_add_f16_e32 v33, v76, v15
	v_fmac_f16_e32 v61, v19, v64
	v_sub_f16_e32 v68, v9, v68
	v_add_f16_e32 v9, v92, v83
	v_add_f16_e32 v4, v12, v92
	v_fmamk_f16 v19, v17, 0x3aee, v94
	v_fmac_f16_e32 v94, 0xbaee, v17
	v_add_f16_e32 v17, v75, v77
	v_fmac_f16_e32 v75, -0.5, v18
	v_add_f16_e32 v18, v82, v76
	v_fmac_f16_e32 v82, -0.5, v33
	v_sub_f16_e32 v33, v77, v5
	v_add_f16_e32 v10, v34, v10
	v_fmac_f16_e32 v12, -0.5, v9
	v_add_f16_e32 v9, v13, v80
	v_sub_f16_e32 v13, v78, v80
	v_sub_f16_e32 v34, v76, v15
	v_add_f16_e32 v35, v4, v83
	v_fmamk_f16 v4, v33, 0xbaee, v82
	v_fmac_f16_e32 v82, 0x3aee, v33
	v_sub_f16_e32 v72, v98, v36
	v_fmamk_f16 v36, v13, 0xbaee, v12
	v_fmac_f16_e32 v12, 0x3aee, v13
	v_fmamk_f16 v13, v34, 0x3aee, v75
	v_fmac_f16_e32 v75, 0xbaee, v34
	v_add_f16_e32 v5, v17, v5
	v_mul_f16_e32 v63, -0.5, v82
	v_pack_b32_f16 v7, v11, v7
	v_mul_f16_e32 v17, 0x3aee, v4
	v_mul_f16_e32 v34, -0.5, v75
	v_add_f16_e32 v74, v9, v5
	v_fmac_f16_e32 v63, 0xbaee, v75
	v_sub_f16_e32 v75, v9, v5
	v_pack_b32_f16 v9, v6, v10
	v_add_f16_e32 v15, v18, v15
	v_mul_f16_e32 v33, 0xbaee, v13
	v_fmac_f16_e32 v17, 0.5, v13
	v_add_f16_e32 v83, v12, v63
	ds_store_2addr_b32 v8, v9, v7 offset1:100
	v_add_f16_e32 v9, v86, v88
	v_add_f16_e32 v78, v35, v15
	v_sub_f16_e32 v80, v35, v15
	v_lshrrev_b32_e32 v13, 16, v62
	v_sub_f16_e32 v7, v12, v63
	v_add_f16_e32 v10, v79, v81
	v_add_f16_e32 v11, v62, v86
	v_fmac_f16_e32 v62, -0.5, v9
	v_sub_f16_e32 v12, v79, v81
	v_add_f16_e32 v15, v37, v16
	v_add_f16_e32 v18, v87, v14
	v_fmac_f16_e32 v33, 0.5, v4
	v_fmac_f16_e32 v34, 0x3aee, v82
	v_add_f16_e32 v76, v19, v17
	v_sub_f16_e32 v4, v19, v17
	v_add_f16_e32 v9, v13, v79
	v_fmac_f16_e32 v13, -0.5, v10
	v_add_f16_e32 v10, v11, v88
	v_sub_f16_e32 v11, v86, v88
	v_fmamk_f16 v17, v12, 0x3aee, v62
	v_fmac_f16_e32 v62, 0xbaee, v12
	v_add_f16_e32 v12, v39, v37
	v_fmac_f16_e32 v39, -0.5, v15
	v_add_f16_e32 v15, v85, v87
	v_fmac_f16_e32 v85, -0.5, v18
	v_sub_f16_e32 v18, v37, v16
	v_sub_f16_e32 v19, v87, v14
	v_add_f16_e32 v77, v94, v34
	v_sub_f16_e32 v5, v94, v34
	v_add_f16_e32 v82, v36, v33
	;; [unrolled: 2-line block ×3, first 2 shown]
	v_fmamk_f16 v34, v11, 0xbaee, v13
	v_fmac_f16_e32 v13, 0x3aee, v11
	v_fmamk_f16 v9, v18, 0xbaee, v85
	v_fmamk_f16 v11, v19, 0x3aee, v39
	v_fmac_f16_e32 v39, 0xbaee, v19
	v_fmac_f16_e32 v85, 0x3aee, v18
	v_add_f16_e32 v12, v12, v16
	v_mul_f16_e32 v16, 0x3aee, v9
	v_mul_f16_e32 v35, 0xbaee, v11
	v_mul_f16_e32 v18, -0.5, v39
	v_mul_f16_e32 v36, -0.5, v85
	v_add_f16_e32 v19, v15, v14
	v_fmac_f16_e32 v16, 0.5, v11
	v_fmac_f16_e32 v35, 0.5, v9
	v_fmac_f16_e32 v18, 0x3aee, v85
	v_fmac_f16_e32 v36, 0xbaee, v39
	v_add_f16_e32 v14, v10, v12
	v_sub_f16_e32 v12, v10, v12
	v_add_f16_e32 v15, v17, v16
	v_sub_f16_e32 v9, v17, v16
	;; [unrolled: 2-line block ×5, first 2 shown]
	v_add_f16_e32 v34, v91, v95
	v_add_f16_e32 v33, v13, v36
	v_lshrrev_b32_e32 v79, 16, v97
	v_sub_f16_e32 v13, v13, v36
	v_add_f16_e32 v35, v89, v84
	v_add_f16_e32 v36, v97, v91
	v_fmac_f16_e32 v97, -0.5, v34
	v_sub_f16_e32 v37, v89, v84
	v_add_f16_e32 v39, v93, v66
	v_add_f16_e32 v63, v38, v61
	;; [unrolled: 1-line block ×3, first 2 shown]
	v_fmac_f16_e32 v79, -0.5, v35
	v_add_f16_e32 v35, v36, v95
	v_sub_f16_e32 v36, v91, v95
	v_fmamk_f16 v62, v37, 0x3aee, v97
	v_fmac_f16_e32 v97, 0xbaee, v37
	v_add_f16_e32 v37, v90, v93
	v_fmac_f16_e32 v90, -0.5, v39
	v_add_f16_e32 v39, v40, v38
	v_fmac_f16_e32 v40, -0.5, v63
	v_sub_f16_e32 v63, v93, v66
	v_sub_f16_e32 v38, v38, v61
	v_add_f16_e32 v64, v34, v84
	v_fmamk_f16 v65, v36, 0xbaee, v79
	v_fmac_f16_e32 v79, 0x3aee, v36
	v_fmamk_f16 v34, v63, 0xbaee, v40
	v_fmamk_f16 v36, v38, 0x3aee, v90
	v_fmac_f16_e32 v90, 0xbaee, v38
	v_fmac_f16_e32 v40, 0x3aee, v63
	v_add_f16_e32 v37, v37, v66
	v_mul_f16_e32 v38, 0x3aee, v34
	v_mul_f16_e32 v66, 0xbaee, v36
	v_mul_f16_e32 v63, -0.5, v90
	v_mul_f16_e32 v81, -0.5, v40
	v_add_f16_e32 v84, v39, v61
	v_fmac_f16_e32 v38, 0.5, v36
	v_fmac_f16_e32 v66, 0.5, v34
	v_fmac_f16_e32 v63, 0x3aee, v40
	v_fmac_f16_e32 v81, 0xbaee, v90
	v_add_f16_e32 v39, v35, v37
	v_sub_f16_e32 v37, v35, v37
	v_add_f16_e32 v40, v62, v38
	v_sub_f16_e32 v34, v62, v38
	;; [unrolled: 2-line block ×5, first 2 shown]
	v_add_f16_e32 v66, v101, v105
	v_pack_b32_f16 v67, v67, v73
	v_pack_b32_f16 v68, v72, v68
	v_add_nc_u32_e32 v8, 0x400, v8
	v_pack_b32_f16 v59, v74, v78
	v_pack_b32_f16 v72, v76, v82
	v_add_f16_e32 v65, v79, v81
	v_lshrrev_b32_e32 v84, 16, v69
	v_sub_f16_e32 v38, v79, v81
	v_add_f16_e32 v79, v102, v104
	v_add_f16_e32 v81, v69, v101
	v_fmac_f16_e32 v69, -0.5, v66
	v_sub_f16_e32 v85, v102, v104
	v_add_f16_e32 v86, v103, v71
	v_add_f16_e32 v88, v96, v70
	ds_store_2addr_b32 v8, v67, v68 offset0:144 offset1:244
	ds_store_2addr_b32 v57, v59, v72 offset1:100
	v_mul_u32_u24_e32 v8, 0x960, v31
	v_lshlrev_b32_e32 v31, 2, v55
	v_add_f16_e32 v66, v84, v102
	v_fmac_f16_e32 v84, -0.5, v79
	v_add_f16_e32 v79, v81, v105
	v_sub_f16_e32 v81, v101, v105
	v_fmamk_f16 v87, v85, 0x3aee, v69
	v_fmac_f16_e32 v69, 0xbaee, v85
	v_add_f16_e32 v85, v99, v103
	v_fmac_f16_e32 v99, -0.5, v86
	v_add_f16_e32 v86, v100, v96
	v_fmac_f16_e32 v100, -0.5, v88
	v_sub_f16_e32 v88, v103, v71
	v_sub_f16_e32 v89, v96, v70
	v_pack_b32_f16 v73, v77, v83
	v_pack_b32_f16 v74, v75, v80
	v_add_nc_u32_e32 v75, 0x200, v57
	v_pack_b32_f16 v4, v4, v6
	v_pack_b32_f16 v5, v5, v7
	v_add_nc_u32_e32 v6, 0x400, v57
	v_add3_u32 v7, 0, v8, v31
	v_pack_b32_f16 v8, v14, v18
	v_pack_b32_f16 v14, v15, v19
	v_fmamk_f16 v90, v81, 0xbaee, v84
	v_fmac_f16_e32 v84, 0x3aee, v81
	v_fmamk_f16 v81, v88, 0xbaee, v100
	v_fmamk_f16 v91, v89, 0x3aee, v99
	v_fmac_f16_e32 v99, 0xbaee, v89
	v_fmac_f16_e32 v100, 0x3aee, v88
	ds_store_2addr_b32 v75, v73, v74 offset0:72 offset1:172
	ds_store_2addr_b32 v6, v4, v5 offset0:144 offset1:244
	ds_store_2addr_b32 v7, v8, v14 offset1:100
	v_mul_u32_u24_e32 v4, 0x960, v54
	v_lshlrev_b32_e32 v5, 2, v56
	v_add_f16_e32 v71, v85, v71
	v_mul_f16_e32 v85, 0x3aee, v81
	v_mul_f16_e32 v88, 0xbaee, v91
	v_mul_f16_e32 v89, -0.5, v99
	v_mul_f16_e32 v92, -0.5, v100
	v_pack_b32_f16 v15, v16, v33
	v_pack_b32_f16 v12, v12, v17
	v_add_nc_u32_e32 v16, 0x200, v7
	v_pack_b32_f16 v6, v9, v11
	v_pack_b32_f16 v8, v10, v13
	v_add_nc_u32_e32 v7, 0x400, v7
	v_add3_u32 v4, 0, v4, v5
	v_pack_b32_f16 v5, v39, v63
	v_pack_b32_f16 v9, v40, v64
	v_add_f16_e32 v66, v66, v104
	v_add_f16_e32 v70, v86, v70
	v_fmac_f16_e32 v85, 0.5, v91
	v_fmac_f16_e32 v88, 0.5, v81
	v_fmac_f16_e32 v89, 0x3aee, v100
	v_fmac_f16_e32 v92, 0xbaee, v99
	ds_store_2addr_b32 v16, v15, v12 offset0:72 offset1:172
	ds_store_2addr_b32 v7, v6, v8 offset0:144 offset1:244
	ds_store_2addr_b32 v4, v5, v9 offset1:100
	v_mul_u32_u24_e32 v5, 0x960, v58
	v_lshlrev_b32_e32 v6, 2, v60
	v_add_f16_e32 v81, v79, v71
	v_sub_f16_e32 v71, v79, v71
	v_add_f16_e32 v79, v87, v85
	v_sub_f16_e32 v85, v87, v85
	;; [unrolled: 2-line block ×3, first 2 shown]
	v_add_f16_e32 v70, v90, v88
	v_add_f16_e32 v86, v69, v89
	v_sub_f16_e32 v69, v69, v89
	v_add_f16_e32 v89, v84, v92
	v_pack_b32_f16 v10, v61, v65
	v_pack_b32_f16 v11, v37, v62
	v_add_nc_u32_e32 v12, 0x200, v4
	v_add3_u32 v5, 0, v5, v6
	v_sub_f16_e32 v88, v90, v88
	v_sub_f16_e32 v84, v84, v92
	v_pack_b32_f16 v7, v34, v36
	v_pack_b32_f16 v8, v35, v38
	v_add_nc_u32_e32 v4, 0x400, v4
	v_mul_u32_u24_e32 v15, 5, v20
	v_pack_b32_f16 v6, v81, v87
	v_pack_b32_f16 v9, v79, v70
	ds_store_2addr_b32 v12, v10, v11 offset0:72 offset1:172
	v_pack_b32_f16 v10, v86, v89
	v_pack_b32_f16 v11, v71, v66
	v_add_nc_u32_e32 v12, 0x200, v5
	v_pack_b32_f16 v13, v85, v88
	v_pack_b32_f16 v14, v69, v84
	v_add_nc_u32_e32 v16, 0x400, v5
	ds_store_2addr_b32 v4, v7, v8 offset0:144 offset1:244
	ds_store_2addr_b32 v5, v6, v9 offset1:100
	ds_store_2addr_b32 v12, v10, v11 offset0:72 offset1:172
	v_lshlrev_b32_e32 v6, 2, v15
	v_mul_i32_i24_e32 v31, 5, v22
	ds_store_2addr_b32 v16, v13, v14 offset0:144 offset1:244
	s_waitcnt lgkmcnt(0)
	s_barrier
	buffer_gl0_inv
	global_load_b128 v[7:10], v6, s[4:5] offset:2360
	v_lshlrev_b64 v[4:5], 2, v[31:32]
	v_mul_i32_i24_e32 v31, 5, v30
	s_delay_alu instid0(VALU_DEP_2) | instskip(NEXT) | instid1(VALU_DEP_1)
	v_add_co_u32 v4, s0, s4, v4
	v_add_co_ci_u32_e64 v5, s0, s5, v5, s0
	s_delay_alu instid0(VALU_DEP_3) | instskip(SKIP_3) | instid1(VALU_DEP_1)
	v_lshlrev_b64 v[15:16], 2, v[31:32]
	v_mul_i32_i24_e32 v31, 5, v29
	global_load_b128 v[11:14], v[4:5], off offset:2360
	v_add_co_u32 v37, s0, s4, v15
	v_add_co_ci_u32_e64 v38, s0, s5, v16, s0
	v_lshlrev_b64 v[33:34], 2, v[31:32]
	v_mul_i32_i24_e32 v31, 5, v28
	global_load_b128 v[15:18], v[37:38], off offset:2360
	v_add_co_u32 v39, s0, s4, v33
	s_delay_alu instid0(VALU_DEP_1)
	v_add_co_ci_u32_e64 v40, s0, s5, v34, s0
	s_clause 0x2
	global_load_b128 v[33:36], v[39:40], off offset:2360
	global_load_b32 v19, v6, s[4:5] offset:2376
	global_load_b32 v66, v[4:5], off offset:2376
	v_lshlrev_b64 v[4:5], 2, v[31:32]
	s_clause 0x1
	global_load_b32 v31, v[37:38], off offset:2376
	global_load_b32 v67, v[39:40], off offset:2376
	v_add_co_u32 v4, s0, s4, v4
	s_delay_alu instid0(VALU_DEP_1)
	v_add_co_ci_u32_e64 v5, s0, s5, v5, s0
	s_clause 0x1
	global_load_b128 v[37:40], v[4:5], off offset:2360
	global_load_b32 v68, v[4:5], off offset:2376
	ds_load_b32 v69, v41
	ds_load_2addr_b32 v[54:55], v52 offset0:104 offset1:224
	ds_load_2addr_b32 v[56:57], v3 offset0:56 offset1:176
	ds_load_b32 v70, v45
	ds_load_2addr_b32 v[58:59], v49 offset0:88 offset1:208
	ds_load_2addr_b32 v[49:50], v50 offset0:40 offset1:160
	;; [unrolled: 1-line block ×4, first 2 shown]
	ds_load_b32 v5, v44
	ds_load_2addr_b32 v[62:63], v53 offset0:56 offset1:176
	ds_load_b32 v3, v46
	ds_load_b32 v4, v43
	ds_load_b32 v23, v41 offset:13920
	ds_load_2addr_b32 v[64:65], v47 offset0:72 offset1:192
	ds_load_2addr_b32 v[47:48], v48 offset0:120 offset1:240
	s_waitcnt lgkmcnt(14)
	v_lshrrev_b32_e32 v53, 16, v69
	s_waitcnt lgkmcnt(13)
	v_lshrrev_b32_e32 v71, 16, v55
	;; [unrolled: 2-line block ×3, first 2 shown]
	v_lshrrev_b32_e32 v78, 16, v57
	s_waitcnt lgkmcnt(10)
	v_lshrrev_b32_e32 v80, 16, v58
	v_lshrrev_b32_e32 v74, 16, v59
	s_waitcnt lgkmcnt(8)
	v_lshrrev_b32_e32 v87, 16, v60
	v_lshrrev_b32_e32 v76, 16, v61
	;; [unrolled: 1-line block ×3, first 2 shown]
	s_waitcnt lgkmcnt(5)
	v_lshrrev_b32_e32 v82, 16, v63
	v_lshrrev_b32_e32 v77, 16, v51
	v_lshrrev_b32_e32 v73, 16, v70
	v_lshrrev_b32_e32 v6, 16, v5
	s_waitcnt vmcnt(9)
	v_lshrrev_b32_e32 v81, 16, v8
	v_lshrrev_b32_e32 v79, 16, v7
	;; [unrolled: 1-line block ×4, first 2 shown]
	s_delay_alu instid0(VALU_DEP_4) | instskip(SKIP_3) | instid1(VALU_DEP_4)
	v_mul_f16_e32 v86, v81, v82
	v_mul_f16_e32 v81, v81, v63
	;; [unrolled: 1-line block ×4, first 2 shown]
	v_fma_f16 v63, v8, v63, -v86
	s_delay_alu instid0(VALU_DEP_4)
	v_fmac_f16_e32 v81, v8, v82
	v_mul_f16_e32 v8, v71, v84
	v_fma_f16 v85, v7, v58, -v85
	v_fmac_f16_e32 v79, v7, v80
	v_mul_f16_e32 v7, v83, v87
	v_mul_f16_e32 v82, v55, v84
	v_fma_f16 v55, v55, v10, -v8
	s_waitcnt vmcnt(8)
	v_lshrrev_b32_e32 v8, 16, v13
	v_mul_f16_e32 v80, v83, v60
	v_fma_f16 v60, v9, v60, -v7
	v_lshrrev_b32_e32 v7, 16, v11
	v_fmac_f16_e32 v82, v71, v10
	v_mul_f16_e32 v58, v76, v8
	v_fmac_f16_e32 v80, v9, v87
	v_lshrrev_b32_e32 v10, 16, v12
	v_mul_f16_e32 v9, v74, v7
	v_mul_f16_e32 v86, v59, v7
	v_fma_f16 v87, v61, v13, -v58
	v_mul_f16_e32 v61, v61, v8
	v_lshrrev_b32_e32 v8, 16, v14
	v_lshrrev_b32_e32 v83, 16, v50
	v_fma_f16 v84, v59, v11, -v9
	v_mul_f16_e32 v9, v75, v10
	ds_load_2addr_b32 v[58:59], v0 offset0:24 offset1:144
	v_mul_f16_e32 v88, v49, v10
	v_fmac_f16_e32 v86, v74, v11
	v_mul_f16_e32 v0, v77, v8
	v_mul_f16_e32 v74, v51, v8
	s_waitcnt vmcnt(7)
	v_lshrrev_b32_e32 v8, 16, v16
	v_fma_f16 v49, v49, v12, -v9
	v_fmac_f16_e32 v88, v75, v12
	v_fmac_f16_e32 v61, v76, v13
	v_fma_f16 v12, v51, v14, -v0
	v_fmac_f16_e32 v74, v77, v14
	v_lshrrev_b32_e32 v0, 16, v15
	v_mul_f16_e32 v9, v83, v8
	v_lshrrev_b32_e32 v13, 16, v52
	v_lshrrev_b32_e32 v14, 16, v18
	s_waitcnt lgkmcnt(2)
	v_lshrrev_b32_e32 v71, 16, v64
	ds_load_2addr_b32 v[10:11], v1 offset0:72 offset1:192
	v_mul_f16_e32 v51, v64, v0
	v_fma_f16 v75, v50, v16, -v9
	v_mul_f16_e32 v50, v50, v8
	v_mul_f16_e32 v8, v13, v14
	v_lshrrev_b32_e32 v9, 16, v17
	s_waitcnt lgkmcnt(2)
	v_lshrrev_b32_e32 v7, 16, v47
	v_mul_f16_e32 v0, v71, v0
	v_fmac_f16_e32 v51, v71, v15
	v_fma_f16 v71, v52, v18, -v8
	v_mul_f16_e32 v14, v52, v14
	v_mul_f16_e32 v52, v47, v9
	v_lshrrev_b32_e32 v76, 16, v65
	v_mul_f16_e32 v8, v7, v9
	ds_load_2addr_b32 v[1:2], v2 offset0:40 offset1:160
	v_fmac_f16_e32 v14, v13, v18
	v_fmac_f16_e32 v52, v7, v17
	s_waitcnt vmcnt(6)
	v_lshrrev_b32_e32 v7, 16, v33
	v_lshrrev_b32_e32 v13, 16, v48
	v_fma_f16 v15, v64, v15, -v0
	v_lshrrev_b32_e32 v18, 16, v34
	v_fmac_f16_e32 v50, v83, v16
	v_mul_f16_e32 v0, v76, v7
	v_mul_f16_e32 v9, v65, v7
	v_lshrrev_b32_e32 v7, 16, v35
	s_waitcnt lgkmcnt(2)
	v_lshrrev_b32_e32 v16, 16, v58
	v_fma_f16 v17, v47, v17, -v8
	s_waitcnt lgkmcnt(1)
	v_lshrrev_b32_e32 v47, 16, v10
	v_fma_f16 v8, v65, v33, -v0
	v_mul_f16_e32 v64, v58, v18
	v_lshrrev_b32_e32 v0, 16, v36
	v_fmac_f16_e32 v9, v76, v33
	v_mul_f16_e32 v33, v13, v7
	v_mul_f16_e32 v18, v16, v18
	v_fmac_f16_e32 v64, v16, v34
	v_mul_f16_e32 v16, v48, v7
	s_waitcnt vmcnt(5)
	v_lshrrev_b32_e32 v65, 16, v19
	v_fma_f16 v33, v48, v35, -v33
	v_mul_f16_e32 v48, v10, v0
	v_mul_f16_e32 v0, v47, v0
	v_fmac_f16_e32 v16, v13, v35
	v_mul_f16_e32 v13, v56, v65
	s_waitcnt vmcnt(4)
	v_lshrrev_b32_e32 v35, 16, v66
	v_fmac_f16_e32 v48, v47, v36
	v_fma_f16 v10, v10, v36, -v0
	v_mul_f16_e32 v36, v72, v65
	s_waitcnt lgkmcnt(0)
	v_lshrrev_b32_e32 v76, 16, v1
	v_fma_f16 v18, v58, v34, -v18
	v_lshrrev_b32_e32 v34, 16, v2
	v_fmac_f16_e32 v13, v72, v19
	v_mul_f16_e32 v47, v78, v35
	s_waitcnt vmcnt(3)
	v_lshrrev_b32_e32 v58, 16, v31
	v_fma_f16 v19, v56, v19, -v36
	s_waitcnt vmcnt(2)
	v_lshrrev_b32_e32 v56, 16, v67
	v_mul_f16_e32 v35, v57, v35
	v_fma_f16 v36, v57, v66, -v47
	v_mul_f16_e32 v47, v1, v58
	v_mul_f16_e32 v58, v76, v58
	;; [unrolled: 1-line block ×3, first 2 shown]
	v_lshrrev_b32_e32 v57, 16, v62
	v_fmac_f16_e32 v35, v78, v66
	v_fmac_f16_e32 v47, v76, v31
	s_waitcnt vmcnt(1)
	v_lshrrev_b32_e32 v66, 16, v37
	v_lshrrev_b32_e32 v72, 16, v59
	v_fma_f16 v31, v1, v31, -v58
	v_mul_f16_e32 v56, v2, v56
	v_fma_f16 v58, v2, v67, -v65
	v_lshrrev_b32_e32 v65, 16, v38
	v_mul_f16_e32 v1, v57, v66
	v_lshrrev_b32_e32 v76, 16, v54
	v_fmac_f16_e32 v56, v34, v67
	v_mul_f16_e32 v2, v62, v66
	v_mul_f16_e32 v67, v72, v65
	v_fma_f16 v1, v62, v37, -v1
	v_lshrrev_b32_e32 v62, 16, v39
	v_mul_f16_e32 v65, v59, v65
	v_lshrrev_b32_e32 v34, 16, v11
	v_fma_f16 v59, v59, v38, -v67
	v_lshrrev_b32_e32 v67, 16, v40
	v_lshrrev_b32_e32 v66, 16, v23
	v_mul_f16_e32 v77, v76, v62
	v_fmac_f16_e32 v2, v57, v37
	v_mul_f16_e32 v37, v54, v62
	v_mul_f16_e32 v57, v11, v67
	s_waitcnt vmcnt(0)
	v_lshrrev_b32_e32 v62, 16, v68
	v_fmac_f16_e32 v65, v72, v38
	v_mul_f16_e32 v38, v34, v67
	v_fma_f16 v54, v54, v39, -v77
	v_fmac_f16_e32 v57, v34, v40
	v_mul_f16_e32 v34, v66, v62
	v_fmac_f16_e32 v37, v76, v39
	v_fma_f16 v11, v11, v40, -v38
	v_mul_f16_e32 v39, v23, v62
	v_add_f16_e32 v40, v69, v63
	v_fma_f16 v23, v23, v68, -v34
	v_add_f16_e32 v34, v81, v82
	v_add_f16_e32 v38, v63, v55
	v_fmac_f16_e32 v39, v66, v68
	v_add_f16_e32 v40, v40, v55
	v_add_f16_e32 v66, v53, v81
	;; [unrolled: 1-line block ×3, first 2 shown]
	v_fmac_f16_e32 v53, -0.5, v34
	v_sub_f16_e32 v34, v63, v55
	v_add_f16_e32 v55, v80, v13
	v_fmac_f16_e32 v69, -0.5, v38
	v_sub_f16_e32 v38, v81, v82
	v_add_f16_e32 v63, v85, v60
	;; [unrolled: 3-line block ×3, first 2 shown]
	v_fmac_f16_e32 v79, -0.5, v55
	v_sub_f16_e32 v55, v60, v19
	v_fmamk_f16 v62, v38, 0x3aee, v69
	v_fmac_f16_e32 v69, 0xbaee, v38
	v_add_f16_e32 v38, v66, v82
	v_fmamk_f16 v66, v67, 0x3aee, v85
	v_fmamk_f16 v72, v55, 0xbaee, v79
	v_fmac_f16_e32 v85, 0xbaee, v67
	v_fmamk_f16 v60, v34, 0xbaee, v53
	v_fmac_f16_e32 v53, 0x3aee, v34
	v_fmac_f16_e32 v79, 0x3aee, v55
	v_mul_f16_e32 v34, 0x3aee, v72
	v_mul_f16_e32 v55, -0.5, v85
	v_add_f16_e32 v13, v68, v13
	v_add_f16_e32 v19, v63, v19
	v_mul_f16_e32 v63, 0xbaee, v66
	v_mul_f16_e32 v67, -0.5, v79
	v_fmac_f16_e32 v34, 0.5, v66
	v_fmac_f16_e32 v55, 0x3aee, v79
	v_add_f16_e32 v76, v38, v13
	v_sub_f16_e32 v13, v38, v13
	v_add_f16_e32 v38, v70, v49
	v_add_f16_e32 v66, v40, v19
	v_fmac_f16_e32 v63, 0.5, v72
	v_fmac_f16_e32 v67, 0xbaee, v85
	v_add_f16_e32 v68, v62, v34
	v_add_f16_e32 v72, v69, v55
	v_sub_f16_e32 v19, v40, v19
	v_add_f16_e32 v40, v49, v12
	v_sub_f16_e32 v34, v62, v34
	v_sub_f16_e32 v55, v69, v55
	v_add_f16_e32 v62, v88, v74
	v_add_f16_e32 v38, v38, v12
	;; [unrolled: 1-line block ×3, first 2 shown]
	v_sub_f16_e32 v12, v49, v12
	v_add_f16_e32 v49, v61, v35
	v_add_f16_e32 v78, v53, v67
	v_sub_f16_e32 v53, v53, v67
	v_add_f16_e32 v67, v73, v88
	v_fmac_f16_e32 v73, -0.5, v62
	v_add_f16_e32 v62, v84, v87
	v_fmac_f16_e32 v84, -0.5, v69
	v_sub_f16_e32 v69, v61, v35
	v_add_f16_e32 v61, v86, v61
	v_fmac_f16_e32 v86, -0.5, v49
	v_sub_f16_e32 v49, v87, v36
	v_fmac_f16_e32 v70, -0.5, v40
	v_sub_f16_e32 v40, v88, v74
	v_add_f16_e32 v77, v60, v63
	v_sub_f16_e32 v60, v60, v63
	v_fmamk_f16 v79, v49, 0xbaee, v86
	v_fmac_f16_e32 v86, 0x3aee, v49
	v_fmamk_f16 v63, v40, 0x3aee, v70
	v_fmac_f16_e32 v70, 0xbaee, v40
	v_add_f16_e32 v40, v67, v74
	v_fmamk_f16 v67, v12, 0xbaee, v73
	v_fmamk_f16 v74, v69, 0x3aee, v84
	v_fmac_f16_e32 v84, 0xbaee, v69
	v_fmac_f16_e32 v73, 0x3aee, v12
	v_add_f16_e32 v12, v62, v36
	v_mul_f16_e32 v36, 0x3aee, v79
	v_add_f16_e32 v35, v61, v35
	v_mul_f16_e32 v49, -0.5, v84
	v_mul_f16_e32 v61, 0xbaee, v74
	v_mul_f16_e32 v62, -0.5, v86
	v_fmac_f16_e32 v36, 0.5, v74
	v_add_f16_e32 v69, v38, v12
	v_fmac_f16_e32 v49, 0x3aee, v86
	v_add_f16_e32 v80, v40, v35
	v_sub_f16_e32 v12, v38, v12
	v_add_f16_e32 v74, v63, v36
	v_add_f16_e32 v38, v75, v71
	v_sub_f16_e32 v36, v63, v36
	v_sub_f16_e32 v35, v40, v35
	v_add_f16_e32 v40, v5, v75
	v_add_f16_e32 v63, v50, v14
	v_fmac_f16_e32 v61, 0.5, v79
	v_fmac_f16_e32 v62, 0xbaee, v84
	v_add_f16_e32 v79, v70, v49
	v_sub_f16_e32 v49, v70, v49
	v_fmac_f16_e32 v5, -0.5, v38
	v_sub_f16_e32 v38, v50, v14
	v_add_f16_e32 v40, v40, v71
	v_add_f16_e32 v50, v6, v50
	;; [unrolled: 1-line block ×3, first 2 shown]
	v_fmac_f16_e32 v6, -0.5, v63
	v_sub_f16_e32 v63, v75, v71
	v_add_f16_e32 v71, v52, v47
	v_add_f16_e32 v82, v73, v62
	v_sub_f16_e32 v62, v73, v62
	v_add_f16_e32 v73, v15, v17
	v_fmac_f16_e32 v15, -0.5, v70
	v_sub_f16_e32 v70, v52, v47
	v_add_f16_e32 v52, v51, v52
	v_fmac_f16_e32 v51, -0.5, v71
	v_sub_f16_e32 v17, v17, v31
	v_add_f16_e32 v14, v50, v14
	v_fmamk_f16 v50, v70, 0x3aee, v15
	v_add_f16_e32 v47, v52, v47
	v_add_f16_e32 v81, v67, v61
	v_fmamk_f16 v71, v17, 0xbaee, v51
	v_fmac_f16_e32 v51, 0x3aee, v17
	v_mul_f16_e32 v52, 0xbaee, v50
	v_sub_f16_e32 v61, v67, v61
	v_fmamk_f16 v67, v38, 0x3aee, v5
	v_mul_f16_e32 v17, 0x3aee, v71
	v_fmac_f16_e32 v5, 0xbaee, v38
	v_fmamk_f16 v38, v63, 0xbaee, v6
	v_fmac_f16_e32 v15, 0xbaee, v70
	v_add_f16_e32 v31, v73, v31
	v_mul_f16_e32 v70, -0.5, v51
	v_fmac_f16_e32 v17, 0.5, v50
	v_fmac_f16_e32 v52, 0.5, v71
	v_add_f16_e32 v71, v14, v47
	v_sub_f16_e32 v14, v14, v47
	v_add_f16_e32 v47, v4, v18
	v_lshrrev_b32_e32 v7, 16, v4
	v_fmac_f16_e32 v6, 0x3aee, v63
	v_mul_f16_e32 v63, -0.5, v15
	v_add_f16_e32 v50, v40, v31
	v_fmac_f16_e32 v70, 0xbaee, v15
	v_add_f16_e32 v15, v67, v17
	v_add_f16_e32 v73, v38, v52
	v_sub_f16_e32 v31, v40, v31
	v_add_f16_e32 v40, v18, v10
	v_sub_f16_e32 v17, v67, v17
	v_sub_f16_e32 v38, v38, v52
	v_add_f16_e32 v52, v64, v48
	v_add_f16_e32 v47, v47, v10
	;; [unrolled: 1-line block ×3, first 2 shown]
	v_sub_f16_e32 v10, v18, v10
	v_add_f16_e32 v18, v16, v56
	v_fmac_f16_e32 v4, -0.5, v40
	v_sub_f16_e32 v40, v64, v48
	v_add_f16_e32 v64, v7, v64
	v_fmac_f16_e32 v7, -0.5, v52
	v_add_f16_e32 v52, v8, v33
	v_fmac_f16_e32 v8, -0.5, v67
	v_sub_f16_e32 v67, v16, v56
	v_add_f16_e32 v16, v9, v16
	v_fmac_f16_e32 v9, -0.5, v18
	v_sub_f16_e32 v18, v33, v58
	v_fmac_f16_e32 v63, 0x3aee, v51
	v_add_f16_e32 v33, v64, v48
	v_fmamk_f16 v48, v67, 0x3aee, v8
	v_fmac_f16_e32 v8, 0xbaee, v67
	v_fmamk_f16 v64, v18, 0xbaee, v9
	v_add_f16_e32 v51, v5, v63
	v_sub_f16_e32 v5, v5, v63
	v_fmamk_f16 v63, v40, 0x3aee, v4
	v_fmac_f16_e32 v4, 0xbaee, v40
	v_fmamk_f16 v40, v10, 0xbaee, v7
	v_fmac_f16_e32 v7, 0x3aee, v10
	v_add_f16_e32 v10, v52, v58
	v_fmac_f16_e32 v9, 0x3aee, v18
	v_mul_f16_e32 v18, 0x3aee, v64
	v_mul_f16_e32 v52, -0.5, v8
	v_add_f16_e32 v16, v16, v56
	v_mul_f16_e32 v56, 0xbaee, v48
	v_mul_f16_e32 v58, -0.5, v9
	v_fmac_f16_e32 v18, 0.5, v48
	v_fmac_f16_e32 v52, 0x3aee, v9
	v_lshrrev_b32_e32 v0, 16, v3
	v_add_f16_e32 v9, v47, v10
	v_fmac_f16_e32 v56, 0.5, v64
	v_fmac_f16_e32 v58, 0xbaee, v8
	v_add_f16_e32 v8, v63, v18
	v_add_f16_e32 v48, v4, v52
	;; [unrolled: 1-line block ×3, first 2 shown]
	v_sub_f16_e32 v10, v47, v10
	v_add_f16_e32 v47, v59, v11
	v_sub_f16_e32 v18, v63, v18
	v_sub_f16_e32 v4, v4, v52
	;; [unrolled: 1-line block ×3, first 2 shown]
	v_add_f16_e32 v33, v3, v59
	v_add_f16_e32 v52, v65, v57
	;; [unrolled: 1-line block ×4, first 2 shown]
	v_sub_f16_e32 v6, v6, v70
	v_add_f16_e32 v70, v7, v58
	v_fmac_f16_e32 v3, -0.5, v47
	v_sub_f16_e32 v47, v65, v57
	v_sub_f16_e32 v7, v7, v58
	v_add_f16_e32 v33, v33, v11
	v_add_f16_e32 v58, v0, v65
	v_fmac_f16_e32 v0, -0.5, v52
	v_sub_f16_e32 v11, v59, v11
	v_add_f16_e32 v52, v37, v39
	v_add_f16_e32 v59, v1, v54
	v_fmac_f16_e32 v1, -0.5, v63
	v_sub_f16_e32 v63, v37, v39
	v_add_f16_e32 v67, v40, v56
	v_sub_f16_e32 v40, v40, v56
	v_fmamk_f16 v56, v47, 0x3aee, v3
	v_add_f16_e32 v37, v2, v37
	v_fmac_f16_e32 v2, -0.5, v52
	v_sub_f16_e32 v52, v54, v23
	v_fmac_f16_e32 v3, 0xbaee, v47
	v_add_f16_e32 v47, v58, v57
	v_fmamk_f16 v57, v63, 0x3aee, v1
	v_fmac_f16_e32 v1, 0xbaee, v63
	v_fmamk_f16 v58, v52, 0xbaee, v2
	v_add_f16_e32 v37, v37, v39
	v_fmac_f16_e32 v2, 0x3aee, v52
	v_mul_f16_e32 v39, 0xbaee, v57
	v_mul_f16_e32 v52, -0.5, v1
	v_fmamk_f16 v54, v11, 0xbaee, v0
	v_fmac_f16_e32 v0, 0x3aee, v11
	v_add_f16_e32 v11, v59, v23
	v_fmac_f16_e32 v39, 0.5, v58
	v_mul_f16_e32 v23, 0x3aee, v58
	v_fmac_f16_e32 v52, 0x3aee, v2
	v_mul_f16_e32 v59, -0.5, v2
	v_add_f16_e32 v2, v33, v11
	v_add_f16_e32 v58, v47, v37
	;; [unrolled: 1-line block ×3, first 2 shown]
	v_sub_f16_e32 v11, v33, v11
	v_sub_f16_e32 v33, v47, v37
	v_sub_f16_e32 v37, v54, v39
	v_pack_b32_f16 v39, v66, v76
	v_pack_b32_f16 v47, v68, v77
	v_fmac_f16_e32 v23, 0.5, v57
	v_add_f16_e32 v57, v3, v52
	v_sub_f16_e32 v3, v3, v52
	v_pack_b32_f16 v52, v72, v78
	v_pack_b32_f16 v13, v19, v13
	;; [unrolled: 1-line block ×3, first 2 shown]
	s_barrier
	buffer_gl0_inv
	v_pack_b32_f16 v34, v55, v53
	ds_store_b32 v41, v39
	ds_store_b32 v41, v47 offset:2400
	ds_store_b32 v41, v52 offset:4800
	;; [unrolled: 1-line block ×5, first 2 shown]
	v_pack_b32_f16 v13, v69, v80
	v_pack_b32_f16 v19, v74, v81
	;; [unrolled: 1-line block ×5, first 2 shown]
	v_fmac_f16_e32 v59, 0xbaee, v1
	v_pack_b32_f16 v36, v49, v62
	ds_store_b32 v45, v13
	ds_store_b32 v45, v19 offset:2400
	ds_store_b32 v45, v34 offset:4800
	;; [unrolled: 1-line block ×5, first 2 shown]
	v_pack_b32_f16 v12, v50, v71
	v_pack_b32_f16 v13, v15, v73
	;; [unrolled: 1-line block ×4, first 2 shown]
	v_add_f16_e32 v1, v56, v23
	v_pack_b32_f16 v17, v17, v38
	v_pack_b32_f16 v5, v5, v6
	v_add_f16_e32 v65, v0, v59
	ds_store_b32 v44, v12
	ds_store_b32 v44, v13 offset:2400
	ds_store_b32 v44, v15 offset:4800
	;; [unrolled: 1-line block ×5, first 2 shown]
	v_pack_b32_f16 v5, v9, v64
	v_pack_b32_f16 v6, v8, v67
	v_sub_f16_e32 v23, v56, v23
	v_pack_b32_f16 v8, v48, v70
	v_sub_f16_e32 v0, v0, v59
	v_pack_b32_f16 v9, v10, v16
	v_pack_b32_f16 v2, v2, v58
	;; [unrolled: 1-line block ×5, first 2 shown]
	ds_store_b32 v43, v5
	ds_store_b32 v43, v6 offset:2400
	ds_store_b32 v43, v8 offset:4800
	;; [unrolled: 1-line block ×5, first 2 shown]
	v_pack_b32_f16 v4, v57, v65
	v_pack_b32_f16 v5, v11, v33
	;; [unrolled: 1-line block ×4, first 2 shown]
	ds_store_b32 v46, v2
	ds_store_b32 v46, v1 offset:2400
	ds_store_b32 v46, v4 offset:4800
	ds_store_b32 v46, v5 offset:7200
	ds_store_b32 v46, v6 offset:9600
	ds_store_b32 v46, v0 offset:12000
	s_waitcnt lgkmcnt(0)
	s_barrier
	buffer_gl0_inv
	ds_load_b32 v8, v41
	v_sub_nc_u32_e32 v2, 0, v21
                                        ; implicit-def: $vgpr6
                                        ; implicit-def: $vgpr5
                                        ; implicit-def: $vgpr4
                                        ; implicit-def: $vgpr0_vgpr1
	s_waitcnt lgkmcnt(0)
	v_lshrrev_b32_e32 v9, 16, v8
	v_cmpx_ne_u32_e32 0, v20
	s_xor_b32 s3, exec_lo, s3
	s_cbranch_execz .LBB0_15
; %bb.14:
	v_mov_b32_e32 v21, v32
	s_delay_alu instid0(VALU_DEP_1) | instskip(NEXT) | instid1(VALU_DEP_1)
	v_lshlrev_b64 v[0:1], 2, v[20:21]
	v_add_co_u32 v0, s0, s1, v0
	s_delay_alu instid0(VALU_DEP_1)
	v_add_co_ci_u32_e64 v1, s0, s2, v1, s0
	global_load_b32 v0, v[0:1], off
	ds_load_b32 v1, v2 offset:14400
	s_waitcnt lgkmcnt(0)
	v_sub_f16_e32 v4, v8, v1
	v_lshrrev_b32_e32 v3, 16, v1
	v_add_f16_e32 v1, v1, v8
	s_delay_alu instid0(VALU_DEP_3) | instskip(NEXT) | instid1(VALU_DEP_3)
	v_mul_f16_e32 v6, 0.5, v4
	v_add_f16_e32 v5, v3, v9
	v_sub_f16_e32 v3, v9, v3
	s_delay_alu instid0(VALU_DEP_2) | instskip(NEXT) | instid1(VALU_DEP_2)
	v_mul_f16_e32 v5, 0.5, v5
	v_mul_f16_e32 v3, 0.5, v3
	s_waitcnt vmcnt(0)
	v_lshrrev_b32_e32 v4, 16, v0
	s_delay_alu instid0(VALU_DEP_1) | instskip(NEXT) | instid1(VALU_DEP_3)
	v_mul_f16_e32 v7, v4, v6
	v_fma_f16 v8, v5, v4, v3
	v_fma_f16 v3, v5, v4, -v3
	s_delay_alu instid0(VALU_DEP_3) | instskip(SKIP_1) | instid1(VALU_DEP_4)
	v_fma_f16 v9, 0.5, v1, v7
	v_fma_f16 v1, v1, 0.5, -v7
	v_fma_f16 v4, -v0, v6, v8
	s_delay_alu instid0(VALU_DEP_4) | instskip(NEXT) | instid1(VALU_DEP_4)
	v_fma_f16 v6, -v0, v6, v3
                                        ; implicit-def: $vgpr8
	v_fmac_f16_e32 v9, v0, v5
	s_delay_alu instid0(VALU_DEP_4)
	v_fma_f16 v5, -v0, v5, v1
	v_dual_mov_b32 v0, v20 :: v_dual_mov_b32 v1, v21
	ds_store_b16 v41, v9
                                        ; implicit-def: $vgpr9
.LBB0_15:
	s_or_saveexec_b32 s0, s3
	v_mul_i32_i24_e32 v7, 0xffffffdc, v22
	v_mul_i32_i24_e32 v3, 0xffffffdc, v30
	s_xor_b32 exec_lo, exec_lo, s0
	s_cbranch_execz .LBB0_17
; %bb.16:
	v_mov_b32_e32 v4, 0
	v_add_f16_e32 v10, v9, v8
	v_sub_f16_e32 v5, v8, v9
	v_mov_b32_e32 v6, 0
	ds_load_u16 v0, v4 offset:7202
	s_waitcnt lgkmcnt(0)
	v_xor_b32_e32 v8, 0x8000, v0
	v_mov_b32_e32 v0, 0
	v_mov_b32_e32 v1, 0
	ds_store_b16 v41, v10
	ds_store_b16 v4, v8 offset:7202
.LBB0_17:
	s_or_b32 exec_lo, exec_lo, s0
	v_mov_b32_e32 v23, 0
	v_perm_b32 v5, v6, v5, 0x5040100
	v_add_nc_u32_e32 v6, v42, v7
	v_lshlrev_b64 v[0:1], 2, v[0:1]
	ds_store_b16 v41, v4 offset:2
	v_lshlrev_b64 v[8:9], 2, v[22:23]
	v_mov_b32_e32 v31, v23
	ds_store_b32 v2, v5 offset:14400
	ds_load_b32 v4, v2 offset:13920
	ds_load_b32 v5, v6
	v_add_nc_u32_e32 v3, v25, v3
	v_add_co_u32 v8, s0, s1, v8
	s_delay_alu instid0(VALU_DEP_1) | instskip(SKIP_3) | instid1(VALU_DEP_2)
	v_add_co_ci_u32_e64 v9, s0, s2, v9, s0
	global_load_b32 v10, v[8:9], off
	v_lshlrev_b64 v[8:9], 2, v[30:31]
	v_mov_b32_e32 v30, v23
	v_add_co_u32 v8, s0, s1, v8
	s_delay_alu instid0(VALU_DEP_1)
	v_add_co_ci_u32_e64 v9, s0, s2, v9, s0
	s_waitcnt lgkmcnt(0)
	v_pk_add_f16 v15, v5, v4 neg_lo:[0,1] neg_hi:[0,1]
	v_pk_add_f16 v4, v5, v4
	global_load_b32 v11, v[8:9], off
	v_lshlrev_b64 v[8:9], 2, v[29:30]
	v_mov_b32_e32 v29, v23
	v_bfi_b32 v5, 0xffff, v15, v4
	v_bfi_b32 v4, 0xffff, v4, v15
	s_delay_alu instid0(VALU_DEP_4) | instskip(NEXT) | instid1(VALU_DEP_1)
	v_add_co_u32 v8, s0, s1, v8
	v_add_co_ci_u32_e64 v9, s0, s2, v9, s0
	s_delay_alu instid0(VALU_DEP_4) | instskip(NEXT) | instid1(VALU_DEP_4)
	v_pk_mul_f16 v5, v5, 0.5 op_sel_hi:[1,0]
	v_pk_mul_f16 v4, v4, 0.5 op_sel_hi:[1,0]
	global_load_b32 v12, v[8:9], off
	v_lshlrev_b64 v[8:9], 2, v[28:29]
	s_delay_alu instid0(VALU_DEP_1) | instskip(NEXT) | instid1(VALU_DEP_1)
	v_add_co_u32 v8, s0, s1, v8
	v_add_co_ci_u32_e64 v9, s0, s2, v9, s0
	global_load_b32 v13, v[8:9], off
	v_add_co_u32 v8, s0, s1, v0
	s_delay_alu instid0(VALU_DEP_1)
	v_add_co_ci_u32_e64 v9, s0, s2, v1, s0
	s_clause 0x1
	global_load_b32 v14, v[8:9], off offset:2400
	global_load_b32 v7, v[8:9], off offset:2880
	s_waitcnt vmcnt(5)
	v_pk_fma_f16 v15, v10, v5, v4 op_sel:[1,0,0]
	v_pk_mul_f16 v16, v10, v5 op_sel_hi:[0,1]
	v_pk_fma_f16 v17, v10, v5, v4 op_sel:[1,0,0] neg_lo:[1,0,0] neg_hi:[1,0,0]
	v_pk_fma_f16 v4, v10, v5, v4 op_sel:[1,0,0] neg_lo:[0,0,1] neg_hi:[0,0,1]
	s_delay_alu instid0(VALU_DEP_3) | instskip(SKIP_1) | instid1(VALU_DEP_4)
	v_pk_add_f16 v5, v15, v16 op_sel:[0,1] op_sel_hi:[1,0]
	v_pk_add_f16 v10, v15, v16 op_sel:[0,1] op_sel_hi:[1,0] neg_lo:[0,1] neg_hi:[0,1]
	v_pk_add_f16 v15, v17, v16 op_sel:[0,1] op_sel_hi:[1,0] neg_lo:[0,1] neg_hi:[0,1]
	s_delay_alu instid0(VALU_DEP_4) | instskip(NEXT) | instid1(VALU_DEP_3)
	v_pk_add_f16 v4, v4, v16 op_sel:[0,1] op_sel_hi:[1,0] neg_lo:[0,1] neg_hi:[0,1]
	v_bfi_b32 v5, 0xffff, v5, v10
	s_delay_alu instid0(VALU_DEP_2)
	v_bfi_b32 v4, 0xffff, v15, v4
	ds_store_b32 v6, v5
	ds_store_b32 v2, v4 offset:13920
	ds_load_b32 v4, v3
	ds_load_b32 v5, v2 offset:13440
	global_load_b32 v6, v[8:9], off offset:3360
	s_waitcnt lgkmcnt(0)
	v_pk_add_f16 v10, v4, v5 neg_lo:[0,1] neg_hi:[0,1]
	v_pk_add_f16 v4, v4, v5
	s_delay_alu instid0(VALU_DEP_1) | instskip(SKIP_1) | instid1(VALU_DEP_2)
	v_bfi_b32 v5, 0xffff, v10, v4
	v_bfi_b32 v4, 0xffff, v4, v10
	v_pk_mul_f16 v5, v5, 0.5 op_sel_hi:[1,0]
	s_delay_alu instid0(VALU_DEP_2) | instskip(SKIP_1) | instid1(VALU_DEP_2)
	v_pk_mul_f16 v4, v4, 0.5 op_sel_hi:[1,0]
	s_waitcnt vmcnt(5)
	v_pk_mul_f16 v15, v11, v5 op_sel_hi:[0,1]
	s_delay_alu instid0(VALU_DEP_2) | instskip(SKIP_2) | instid1(VALU_DEP_3)
	v_pk_fma_f16 v10, v11, v5, v4 op_sel:[1,0,0]
	v_pk_fma_f16 v16, v11, v5, v4 op_sel:[1,0,0] neg_lo:[1,0,0] neg_hi:[1,0,0]
	v_pk_fma_f16 v4, v11, v5, v4 op_sel:[1,0,0] neg_lo:[0,0,1] neg_hi:[0,0,1]
	v_pk_add_f16 v5, v10, v15 op_sel:[0,1] op_sel_hi:[1,0]
	v_pk_add_f16 v10, v10, v15 op_sel:[0,1] op_sel_hi:[1,0] neg_lo:[0,1] neg_hi:[0,1]
	s_delay_alu instid0(VALU_DEP_4) | instskip(NEXT) | instid1(VALU_DEP_4)
	v_pk_add_f16 v11, v16, v15 op_sel:[0,1] op_sel_hi:[1,0] neg_lo:[0,1] neg_hi:[0,1]
	v_pk_add_f16 v4, v4, v15 op_sel:[0,1] op_sel_hi:[1,0] neg_lo:[0,1] neg_hi:[0,1]
	s_delay_alu instid0(VALU_DEP_3) | instskip(NEXT) | instid1(VALU_DEP_2)
	v_bfi_b32 v5, 0xffff, v5, v10
	v_bfi_b32 v4, 0xffff, v11, v4
	ds_store_b32 v3, v5
	ds_store_b32 v2, v4 offset:13440
	ds_load_b32 v3, v43
	ds_load_b32 v4, v2 offset:12960
	global_load_b32 v5, v[8:9], off offset:3840
	s_waitcnt lgkmcnt(0)
	v_pk_add_f16 v10, v3, v4 neg_lo:[0,1] neg_hi:[0,1]
	v_pk_add_f16 v3, v3, v4
	s_delay_alu instid0(VALU_DEP_1) | instskip(SKIP_2) | instid1(VALU_DEP_1)
	v_bfi_b32 v11, 0xffff, v10, v3
	v_bfi_b32 v10, 0xffff, v3, v10
	v_add_co_u32 v3, s0, 0x1000, v8
	v_add_co_ci_u32_e64 v4, s0, 0, v9, s0
	s_delay_alu instid0(VALU_DEP_4) | instskip(NEXT) | instid1(VALU_DEP_4)
	v_pk_mul_f16 v8, v11, 0.5 op_sel_hi:[1,0]
	v_pk_mul_f16 v9, v10, 0.5 op_sel_hi:[1,0]
	s_clause 0x1
	global_load_b32 v10, v[3:4], off offset:224
	global_load_b32 v11, v[3:4], off offset:704
	s_waitcnt vmcnt(7)
	v_pk_mul_f16 v16, v12, v8 op_sel_hi:[0,1]
	v_pk_fma_f16 v15, v12, v8, v9 op_sel:[1,0,0]
	v_pk_fma_f16 v17, v12, v8, v9 op_sel:[1,0,0] neg_lo:[1,0,0] neg_hi:[1,0,0]
	v_pk_fma_f16 v8, v12, v8, v9 op_sel:[1,0,0] neg_lo:[0,0,1] neg_hi:[0,0,1]
	s_delay_alu instid0(VALU_DEP_3) | instskip(SKIP_1) | instid1(VALU_DEP_4)
	v_pk_add_f16 v9, v15, v16 op_sel:[0,1] op_sel_hi:[1,0]
	v_pk_add_f16 v12, v15, v16 op_sel:[0,1] op_sel_hi:[1,0] neg_lo:[0,1] neg_hi:[0,1]
	v_pk_add_f16 v15, v17, v16 op_sel:[0,1] op_sel_hi:[1,0] neg_lo:[0,1] neg_hi:[0,1]
	s_delay_alu instid0(VALU_DEP_4) | instskip(NEXT) | instid1(VALU_DEP_3)
	v_pk_add_f16 v8, v8, v16 op_sel:[0,1] op_sel_hi:[1,0] neg_lo:[0,1] neg_hi:[0,1]
	v_bfi_b32 v9, 0xffff, v9, v12
	s_delay_alu instid0(VALU_DEP_2)
	v_bfi_b32 v8, 0xffff, v15, v8
	ds_store_b32 v43, v9
	ds_store_b32 v2, v8 offset:12960
	ds_load_b32 v8, v46
	ds_load_b32 v9, v2 offset:12480
	s_waitcnt lgkmcnt(0)
	v_pk_add_f16 v12, v8, v9 neg_lo:[0,1] neg_hi:[0,1]
	v_pk_add_f16 v8, v8, v9
	s_delay_alu instid0(VALU_DEP_1) | instskip(SKIP_1) | instid1(VALU_DEP_2)
	v_bfi_b32 v9, 0xffff, v12, v8
	v_bfi_b32 v8, 0xffff, v8, v12
	v_pk_mul_f16 v9, v9, 0.5 op_sel_hi:[1,0]
	s_delay_alu instid0(VALU_DEP_2) | instskip(SKIP_1) | instid1(VALU_DEP_2)
	v_pk_mul_f16 v8, v8, 0.5 op_sel_hi:[1,0]
	s_waitcnt vmcnt(6)
	v_pk_mul_f16 v15, v13, v9 op_sel_hi:[0,1]
	s_delay_alu instid0(VALU_DEP_2) | instskip(SKIP_2) | instid1(VALU_DEP_3)
	v_pk_fma_f16 v12, v13, v9, v8 op_sel:[1,0,0]
	v_pk_fma_f16 v16, v13, v9, v8 op_sel:[1,0,0] neg_lo:[1,0,0] neg_hi:[1,0,0]
	v_pk_fma_f16 v8, v13, v9, v8 op_sel:[1,0,0] neg_lo:[0,0,1] neg_hi:[0,0,1]
	v_pk_add_f16 v9, v12, v15 op_sel:[0,1] op_sel_hi:[1,0]
	v_pk_add_f16 v12, v12, v15 op_sel:[0,1] op_sel_hi:[1,0] neg_lo:[0,1] neg_hi:[0,1]
	s_delay_alu instid0(VALU_DEP_4) | instskip(NEXT) | instid1(VALU_DEP_4)
	v_pk_add_f16 v13, v16, v15 op_sel:[0,1] op_sel_hi:[1,0] neg_lo:[0,1] neg_hi:[0,1]
	v_pk_add_f16 v8, v8, v15 op_sel:[0,1] op_sel_hi:[1,0] neg_lo:[0,1] neg_hi:[0,1]
	s_delay_alu instid0(VALU_DEP_3) | instskip(NEXT) | instid1(VALU_DEP_2)
	v_bfi_b32 v9, 0xffff, v9, v12
	v_bfi_b32 v8, 0xffff, v13, v8
	ds_store_b32 v46, v9
	ds_store_b32 v2, v8 offset:12480
	ds_load_b32 v8, v41 offset:2400
	ds_load_b32 v9, v2 offset:12000
	s_waitcnt lgkmcnt(0)
	v_pk_add_f16 v12, v8, v9 neg_lo:[0,1] neg_hi:[0,1]
	v_pk_add_f16 v8, v8, v9
	s_delay_alu instid0(VALU_DEP_1) | instskip(SKIP_1) | instid1(VALU_DEP_2)
	v_bfi_b32 v9, 0xffff, v12, v8
	v_bfi_b32 v8, 0xffff, v8, v12
	v_pk_mul_f16 v9, v9, 0.5 op_sel_hi:[1,0]
	s_delay_alu instid0(VALU_DEP_2) | instskip(SKIP_1) | instid1(VALU_DEP_2)
	v_pk_mul_f16 v8, v8, 0.5 op_sel_hi:[1,0]
	s_waitcnt vmcnt(5)
	v_pk_mul_f16 v13, v14, v9 op_sel_hi:[0,1]
	s_delay_alu instid0(VALU_DEP_2) | instskip(SKIP_2) | instid1(VALU_DEP_3)
	v_pk_fma_f16 v12, v14, v9, v8 op_sel:[1,0,0]
	v_pk_fma_f16 v15, v14, v9, v8 op_sel:[1,0,0] neg_lo:[1,0,0] neg_hi:[1,0,0]
	v_pk_fma_f16 v8, v14, v9, v8 op_sel:[1,0,0] neg_lo:[0,0,1] neg_hi:[0,0,1]
	v_pk_add_f16 v9, v12, v13 op_sel:[0,1] op_sel_hi:[1,0]
	v_pk_add_f16 v12, v12, v13 op_sel:[0,1] op_sel_hi:[1,0] neg_lo:[0,1] neg_hi:[0,1]
	s_delay_alu instid0(VALU_DEP_4) | instskip(NEXT) | instid1(VALU_DEP_4)
	v_pk_add_f16 v14, v15, v13 op_sel:[0,1] op_sel_hi:[1,0] neg_lo:[0,1] neg_hi:[0,1]
	v_pk_add_f16 v8, v8, v13 op_sel:[0,1] op_sel_hi:[1,0] neg_lo:[0,1] neg_hi:[0,1]
	s_delay_alu instid0(VALU_DEP_3) | instskip(NEXT) | instid1(VALU_DEP_2)
	v_bfi_b32 v9, 0xffff, v9, v12
	v_bfi_b32 v8, 0xffff, v14, v8
	ds_store_b32 v41, v9 offset:2400
	ds_store_b32 v2, v8 offset:12000
	ds_load_b32 v8, v41 offset:2880
	ds_load_b32 v9, v2 offset:11520
	global_load_b32 v12, v[3:4], off offset:1184
	s_waitcnt lgkmcnt(0)
	v_pk_add_f16 v13, v8, v9 neg_lo:[0,1] neg_hi:[0,1]
	v_pk_add_f16 v8, v8, v9
	s_delay_alu instid0(VALU_DEP_1) | instskip(SKIP_1) | instid1(VALU_DEP_2)
	v_bfi_b32 v9, 0xffff, v13, v8
	v_bfi_b32 v8, 0xffff, v8, v13
	v_pk_mul_f16 v9, v9, 0.5 op_sel_hi:[1,0]
	s_delay_alu instid0(VALU_DEP_2) | instskip(SKIP_1) | instid1(VALU_DEP_2)
	v_pk_mul_f16 v8, v8, 0.5 op_sel_hi:[1,0]
	s_waitcnt vmcnt(5)
	v_pk_mul_f16 v14, v7, v9 op_sel_hi:[0,1]
	s_delay_alu instid0(VALU_DEP_2) | instskip(SKIP_2) | instid1(VALU_DEP_3)
	v_pk_fma_f16 v13, v7, v9, v8 op_sel:[1,0,0]
	v_pk_fma_f16 v15, v7, v9, v8 op_sel:[1,0,0] neg_lo:[1,0,0] neg_hi:[1,0,0]
	v_pk_fma_f16 v7, v7, v9, v8 op_sel:[1,0,0] neg_lo:[0,0,1] neg_hi:[0,0,1]
	v_pk_add_f16 v8, v13, v14 op_sel:[0,1] op_sel_hi:[1,0]
	v_pk_add_f16 v9, v13, v14 op_sel:[0,1] op_sel_hi:[1,0] neg_lo:[0,1] neg_hi:[0,1]
	s_delay_alu instid0(VALU_DEP_4) | instskip(NEXT) | instid1(VALU_DEP_4)
	v_pk_add_f16 v13, v15, v14 op_sel:[0,1] op_sel_hi:[1,0] neg_lo:[0,1] neg_hi:[0,1]
	v_pk_add_f16 v7, v7, v14 op_sel:[0,1] op_sel_hi:[1,0] neg_lo:[0,1] neg_hi:[0,1]
	s_delay_alu instid0(VALU_DEP_3) | instskip(NEXT) | instid1(VALU_DEP_2)
	v_bfi_b32 v8, 0xffff, v8, v9
	v_bfi_b32 v7, 0xffff, v13, v7
	ds_store_b32 v41, v8 offset:2880
	ds_store_b32 v2, v7 offset:11520
	ds_load_b32 v7, v41 offset:3360
	ds_load_b32 v8, v2 offset:11040
	global_load_b32 v9, v[3:4], off offset:1664
	s_waitcnt lgkmcnt(0)
	v_pk_add_f16 v13, v7, v8 neg_lo:[0,1] neg_hi:[0,1]
	v_pk_add_f16 v7, v7, v8
	s_delay_alu instid0(VALU_DEP_1) | instskip(SKIP_1) | instid1(VALU_DEP_2)
	v_bfi_b32 v8, 0xffff, v13, v7
	v_bfi_b32 v7, 0xffff, v7, v13
	v_pk_mul_f16 v8, v8, 0.5 op_sel_hi:[1,0]
	s_delay_alu instid0(VALU_DEP_2) | instskip(SKIP_1) | instid1(VALU_DEP_1)
	v_pk_mul_f16 v7, v7, 0.5 op_sel_hi:[1,0]
	s_waitcnt vmcnt(5)
	v_pk_fma_f16 v13, v6, v8, v7 op_sel:[1,0,0]
	v_pk_mul_f16 v14, v6, v8 op_sel_hi:[0,1]
	v_pk_fma_f16 v15, v6, v8, v7 op_sel:[1,0,0] neg_lo:[1,0,0] neg_hi:[1,0,0]
	v_pk_fma_f16 v6, v6, v8, v7 op_sel:[1,0,0] neg_lo:[0,0,1] neg_hi:[0,0,1]
	s_delay_alu instid0(VALU_DEP_3) | instskip(SKIP_1) | instid1(VALU_DEP_4)
	v_pk_add_f16 v7, v13, v14 op_sel:[0,1] op_sel_hi:[1,0]
	v_pk_add_f16 v8, v13, v14 op_sel:[0,1] op_sel_hi:[1,0] neg_lo:[0,1] neg_hi:[0,1]
	v_pk_add_f16 v13, v15, v14 op_sel:[0,1] op_sel_hi:[1,0] neg_lo:[0,1] neg_hi:[0,1]
	s_delay_alu instid0(VALU_DEP_4) | instskip(NEXT) | instid1(VALU_DEP_3)
	v_pk_add_f16 v6, v6, v14 op_sel:[0,1] op_sel_hi:[1,0] neg_lo:[0,1] neg_hi:[0,1]
	v_bfi_b32 v7, 0xffff, v7, v8
	s_delay_alu instid0(VALU_DEP_2)
	v_bfi_b32 v6, 0xffff, v13, v6
	ds_store_b32 v41, v7 offset:3360
	ds_store_b32 v2, v6 offset:11040
	ds_load_b32 v6, v41 offset:3840
	ds_load_b32 v7, v2 offset:10560
	global_load_b32 v8, v[3:4], off offset:2144
	s_waitcnt lgkmcnt(0)
	v_pk_add_f16 v13, v6, v7 neg_lo:[0,1] neg_hi:[0,1]
	v_pk_add_f16 v6, v6, v7
	s_delay_alu instid0(VALU_DEP_1) | instskip(SKIP_1) | instid1(VALU_DEP_2)
	v_bfi_b32 v7, 0xffff, v13, v6
	v_bfi_b32 v6, 0xffff, v6, v13
	v_pk_mul_f16 v7, v7, 0.5 op_sel_hi:[1,0]
	s_delay_alu instid0(VALU_DEP_2) | instskip(SKIP_1) | instid1(VALU_DEP_2)
	v_pk_mul_f16 v6, v6, 0.5 op_sel_hi:[1,0]
	s_waitcnt vmcnt(5)
	v_pk_mul_f16 v14, v5, v7 op_sel_hi:[0,1]
	s_delay_alu instid0(VALU_DEP_2) | instskip(SKIP_2) | instid1(VALU_DEP_3)
	v_pk_fma_f16 v13, v5, v7, v6 op_sel:[1,0,0]
	v_pk_fma_f16 v15, v5, v7, v6 op_sel:[1,0,0] neg_lo:[1,0,0] neg_hi:[1,0,0]
	v_pk_fma_f16 v5, v5, v7, v6 op_sel:[1,0,0] neg_lo:[0,0,1] neg_hi:[0,0,1]
	v_pk_add_f16 v6, v13, v14 op_sel:[0,1] op_sel_hi:[1,0]
	v_pk_add_f16 v7, v13, v14 op_sel:[0,1] op_sel_hi:[1,0] neg_lo:[0,1] neg_hi:[0,1]
	s_delay_alu instid0(VALU_DEP_4) | instskip(NEXT) | instid1(VALU_DEP_4)
	v_pk_add_f16 v13, v15, v14 op_sel:[0,1] op_sel_hi:[1,0] neg_lo:[0,1] neg_hi:[0,1]
	v_pk_add_f16 v5, v5, v14 op_sel:[0,1] op_sel_hi:[1,0] neg_lo:[0,1] neg_hi:[0,1]
	s_delay_alu instid0(VALU_DEP_3) | instskip(NEXT) | instid1(VALU_DEP_2)
	v_bfi_b32 v6, 0xffff, v6, v7
	v_bfi_b32 v5, 0xffff, v13, v5
	ds_store_b32 v41, v6 offset:3840
	ds_store_b32 v2, v5 offset:10560
	ds_load_b32 v5, v41 offset:4320
	ds_load_b32 v6, v2 offset:10080
	global_load_b32 v3, v[3:4], off offset:2624
	s_waitcnt lgkmcnt(0)
	v_pk_add_f16 v4, v5, v6 neg_lo:[0,1] neg_hi:[0,1]
	v_pk_add_f16 v5, v5, v6
	s_delay_alu instid0(VALU_DEP_1) | instskip(SKIP_1) | instid1(VALU_DEP_2)
	v_bfi_b32 v6, 0xffff, v4, v5
	v_bfi_b32 v4, 0xffff, v5, v4
	v_pk_mul_f16 v5, v6, 0.5 op_sel_hi:[1,0]
	s_delay_alu instid0(VALU_DEP_2) | instskip(SKIP_1) | instid1(VALU_DEP_2)
	v_pk_mul_f16 v4, v4, 0.5 op_sel_hi:[1,0]
	s_waitcnt vmcnt(5)
	v_pk_mul_f16 v7, v10, v5 op_sel_hi:[0,1]
	s_delay_alu instid0(VALU_DEP_2) | instskip(SKIP_2) | instid1(VALU_DEP_3)
	v_pk_fma_f16 v6, v10, v5, v4 op_sel:[1,0,0]
	v_pk_fma_f16 v13, v10, v5, v4 op_sel:[1,0,0] neg_lo:[1,0,0] neg_hi:[1,0,0]
	v_pk_fma_f16 v4, v10, v5, v4 op_sel:[1,0,0] neg_lo:[0,0,1] neg_hi:[0,0,1]
	v_pk_add_f16 v5, v6, v7 op_sel:[0,1] op_sel_hi:[1,0]
	v_pk_add_f16 v6, v6, v7 op_sel:[0,1] op_sel_hi:[1,0] neg_lo:[0,1] neg_hi:[0,1]
	s_delay_alu instid0(VALU_DEP_4) | instskip(NEXT) | instid1(VALU_DEP_4)
	v_pk_add_f16 v10, v13, v7 op_sel:[0,1] op_sel_hi:[1,0] neg_lo:[0,1] neg_hi:[0,1]
	v_pk_add_f16 v4, v4, v7 op_sel:[0,1] op_sel_hi:[1,0] neg_lo:[0,1] neg_hi:[0,1]
	s_delay_alu instid0(VALU_DEP_3) | instskip(NEXT) | instid1(VALU_DEP_2)
	v_bfi_b32 v5, 0xffff, v5, v6
	v_bfi_b32 v4, 0xffff, v10, v4
	ds_store_b32 v41, v5 offset:4320
	ds_store_b32 v2, v4 offset:10080
	ds_load_b32 v4, v41 offset:4800
	ds_load_b32 v5, v2 offset:9600
	s_waitcnt lgkmcnt(0)
	v_pk_add_f16 v6, v4, v5 neg_lo:[0,1] neg_hi:[0,1]
	v_pk_add_f16 v4, v4, v5
	s_delay_alu instid0(VALU_DEP_1) | instskip(SKIP_1) | instid1(VALU_DEP_2)
	v_bfi_b32 v5, 0xffff, v6, v4
	v_bfi_b32 v4, 0xffff, v4, v6
	v_pk_mul_f16 v5, v5, 0.5 op_sel_hi:[1,0]
	s_delay_alu instid0(VALU_DEP_2) | instskip(SKIP_1) | instid1(VALU_DEP_2)
	v_pk_mul_f16 v4, v4, 0.5 op_sel_hi:[1,0]
	s_waitcnt vmcnt(4)
	v_pk_mul_f16 v7, v11, v5 op_sel_hi:[0,1]
	s_delay_alu instid0(VALU_DEP_2) | instskip(SKIP_2) | instid1(VALU_DEP_3)
	v_pk_fma_f16 v6, v11, v5, v4 op_sel:[1,0,0]
	v_pk_fma_f16 v10, v11, v5, v4 op_sel:[1,0,0] neg_lo:[1,0,0] neg_hi:[1,0,0]
	v_pk_fma_f16 v4, v11, v5, v4 op_sel:[1,0,0] neg_lo:[0,0,1] neg_hi:[0,0,1]
	v_pk_add_f16 v5, v6, v7 op_sel:[0,1] op_sel_hi:[1,0]
	v_pk_add_f16 v6, v6, v7 op_sel:[0,1] op_sel_hi:[1,0] neg_lo:[0,1] neg_hi:[0,1]
	s_delay_alu instid0(VALU_DEP_4) | instskip(NEXT) | instid1(VALU_DEP_4)
	v_pk_add_f16 v10, v10, v7 op_sel:[0,1] op_sel_hi:[1,0] neg_lo:[0,1] neg_hi:[0,1]
	v_pk_add_f16 v4, v4, v7 op_sel:[0,1] op_sel_hi:[1,0] neg_lo:[0,1] neg_hi:[0,1]
	s_delay_alu instid0(VALU_DEP_3) | instskip(NEXT) | instid1(VALU_DEP_2)
	v_bfi_b32 v5, 0xffff, v5, v6
	v_bfi_b32 v4, 0xffff, v10, v4
	ds_store_b32 v41, v5 offset:4800
	ds_store_b32 v2, v4 offset:9600
	ds_load_b32 v4, v41 offset:5280
	ds_load_b32 v5, v2 offset:9120
	s_waitcnt lgkmcnt(0)
	v_pk_add_f16 v6, v4, v5 neg_lo:[0,1] neg_hi:[0,1]
	v_pk_add_f16 v4, v4, v5
	s_delay_alu instid0(VALU_DEP_1) | instskip(SKIP_1) | instid1(VALU_DEP_2)
	v_bfi_b32 v5, 0xffff, v6, v4
	v_bfi_b32 v4, 0xffff, v4, v6
	v_pk_mul_f16 v5, v5, 0.5 op_sel_hi:[1,0]
	s_delay_alu instid0(VALU_DEP_2) | instskip(SKIP_1) | instid1(VALU_DEP_1)
	v_pk_mul_f16 v4, v4, 0.5 op_sel_hi:[1,0]
	s_waitcnt vmcnt(3)
	v_pk_fma_f16 v6, v12, v5, v4 op_sel:[1,0,0]
	v_pk_mul_f16 v7, v12, v5 op_sel_hi:[0,1]
	v_pk_fma_f16 v10, v12, v5, v4 op_sel:[1,0,0] neg_lo:[1,0,0] neg_hi:[1,0,0]
	v_pk_fma_f16 v4, v12, v5, v4 op_sel:[1,0,0] neg_lo:[0,0,1] neg_hi:[0,0,1]
	s_delay_alu instid0(VALU_DEP_3) | instskip(SKIP_1) | instid1(VALU_DEP_4)
	v_pk_add_f16 v5, v6, v7 op_sel:[0,1] op_sel_hi:[1,0]
	v_pk_add_f16 v6, v6, v7 op_sel:[0,1] op_sel_hi:[1,0] neg_lo:[0,1] neg_hi:[0,1]
	v_pk_add_f16 v10, v10, v7 op_sel:[0,1] op_sel_hi:[1,0] neg_lo:[0,1] neg_hi:[0,1]
	s_delay_alu instid0(VALU_DEP_4) | instskip(NEXT) | instid1(VALU_DEP_3)
	v_pk_add_f16 v4, v4, v7 op_sel:[0,1] op_sel_hi:[1,0] neg_lo:[0,1] neg_hi:[0,1]
	v_bfi_b32 v5, 0xffff, v5, v6
	s_delay_alu instid0(VALU_DEP_2)
	v_bfi_b32 v4, 0xffff, v10, v4
	ds_store_b32 v41, v5 offset:5280
	ds_store_b32 v2, v4 offset:9120
	ds_load_b32 v4, v41 offset:5760
	ds_load_b32 v5, v2 offset:8640
	s_waitcnt lgkmcnt(0)
	v_pk_add_f16 v6, v4, v5 neg_lo:[0,1] neg_hi:[0,1]
	v_pk_add_f16 v4, v4, v5
	s_delay_alu instid0(VALU_DEP_1) | instskip(SKIP_1) | instid1(VALU_DEP_2)
	v_bfi_b32 v5, 0xffff, v6, v4
	v_bfi_b32 v4, 0xffff, v4, v6
	v_pk_mul_f16 v5, v5, 0.5 op_sel_hi:[1,0]
	s_delay_alu instid0(VALU_DEP_2) | instskip(SKIP_1) | instid1(VALU_DEP_2)
	v_pk_mul_f16 v4, v4, 0.5 op_sel_hi:[1,0]
	s_waitcnt vmcnt(2)
	v_pk_mul_f16 v7, v9, v5 op_sel_hi:[0,1]
	s_delay_alu instid0(VALU_DEP_2) | instskip(SKIP_2) | instid1(VALU_DEP_3)
	v_pk_fma_f16 v6, v9, v5, v4 op_sel:[1,0,0]
	v_pk_fma_f16 v10, v9, v5, v4 op_sel:[1,0,0] neg_lo:[1,0,0] neg_hi:[1,0,0]
	v_pk_fma_f16 v4, v9, v5, v4 op_sel:[1,0,0] neg_lo:[0,0,1] neg_hi:[0,0,1]
	v_pk_add_f16 v5, v6, v7 op_sel:[0,1] op_sel_hi:[1,0]
	v_pk_add_f16 v6, v6, v7 op_sel:[0,1] op_sel_hi:[1,0] neg_lo:[0,1] neg_hi:[0,1]
	s_delay_alu instid0(VALU_DEP_4) | instskip(NEXT) | instid1(VALU_DEP_4)
	v_pk_add_f16 v9, v10, v7 op_sel:[0,1] op_sel_hi:[1,0] neg_lo:[0,1] neg_hi:[0,1]
	v_pk_add_f16 v4, v4, v7 op_sel:[0,1] op_sel_hi:[1,0] neg_lo:[0,1] neg_hi:[0,1]
	s_delay_alu instid0(VALU_DEP_3) | instskip(NEXT) | instid1(VALU_DEP_2)
	v_bfi_b32 v5, 0xffff, v5, v6
	v_bfi_b32 v4, 0xffff, v9, v4
	ds_store_b32 v41, v5 offset:5760
	ds_store_b32 v2, v4 offset:8640
	ds_load_b32 v4, v41 offset:6240
	ds_load_b32 v5, v2 offset:8160
	s_waitcnt lgkmcnt(0)
	v_pk_add_f16 v6, v4, v5 neg_lo:[0,1] neg_hi:[0,1]
	v_pk_add_f16 v4, v4, v5
	s_delay_alu instid0(VALU_DEP_1) | instskip(SKIP_1) | instid1(VALU_DEP_2)
	v_bfi_b32 v5, 0xffff, v6, v4
	v_bfi_b32 v4, 0xffff, v4, v6
	v_pk_mul_f16 v5, v5, 0.5 op_sel_hi:[1,0]
	s_delay_alu instid0(VALU_DEP_2) | instskip(SKIP_1) | instid1(VALU_DEP_1)
	v_pk_mul_f16 v4, v4, 0.5 op_sel_hi:[1,0]
	s_waitcnt vmcnt(1)
	v_pk_fma_f16 v6, v8, v5, v4 op_sel:[1,0,0]
	v_pk_mul_f16 v7, v8, v5 op_sel_hi:[0,1]
	v_pk_fma_f16 v9, v8, v5, v4 op_sel:[1,0,0] neg_lo:[1,0,0] neg_hi:[1,0,0]
	v_pk_fma_f16 v4, v8, v5, v4 op_sel:[1,0,0] neg_lo:[0,0,1] neg_hi:[0,0,1]
	s_delay_alu instid0(VALU_DEP_3) | instskip(SKIP_1) | instid1(VALU_DEP_4)
	v_pk_add_f16 v5, v6, v7 op_sel:[0,1] op_sel_hi:[1,0]
	v_pk_add_f16 v6, v6, v7 op_sel:[0,1] op_sel_hi:[1,0] neg_lo:[0,1] neg_hi:[0,1]
	v_pk_add_f16 v8, v9, v7 op_sel:[0,1] op_sel_hi:[1,0] neg_lo:[0,1] neg_hi:[0,1]
	s_delay_alu instid0(VALU_DEP_4) | instskip(NEXT) | instid1(VALU_DEP_3)
	v_pk_add_f16 v4, v4, v7 op_sel:[0,1] op_sel_hi:[1,0] neg_lo:[0,1] neg_hi:[0,1]
	v_bfi_b32 v5, 0xffff, v5, v6
	s_delay_alu instid0(VALU_DEP_2)
	v_bfi_b32 v4, 0xffff, v8, v4
	ds_store_b32 v41, v5 offset:6240
	ds_store_b32 v2, v4 offset:8160
	ds_load_b32 v4, v41 offset:6720
	ds_load_b32 v5, v2 offset:7680
	s_waitcnt lgkmcnt(0)
	v_pk_add_f16 v6, v4, v5 neg_lo:[0,1] neg_hi:[0,1]
	v_pk_add_f16 v4, v4, v5
	s_delay_alu instid0(VALU_DEP_1) | instskip(SKIP_1) | instid1(VALU_DEP_2)
	v_bfi_b32 v5, 0xffff, v6, v4
	v_bfi_b32 v4, 0xffff, v4, v6
	v_pk_mul_f16 v5, v5, 0.5 op_sel_hi:[1,0]
	s_delay_alu instid0(VALU_DEP_2) | instskip(SKIP_1) | instid1(VALU_DEP_2)
	v_pk_mul_f16 v4, v4, 0.5 op_sel_hi:[1,0]
	s_waitcnt vmcnt(0)
	v_pk_mul_f16 v7, v3, v5 op_sel_hi:[0,1]
	s_delay_alu instid0(VALU_DEP_2) | instskip(SKIP_2) | instid1(VALU_DEP_3)
	v_pk_fma_f16 v6, v3, v5, v4 op_sel:[1,0,0]
	v_pk_fma_f16 v8, v3, v5, v4 op_sel:[1,0,0] neg_lo:[1,0,0] neg_hi:[1,0,0]
	v_pk_fma_f16 v3, v3, v5, v4 op_sel:[1,0,0] neg_lo:[0,0,1] neg_hi:[0,0,1]
	v_pk_add_f16 v4, v6, v7 op_sel:[0,1] op_sel_hi:[1,0]
	v_pk_add_f16 v5, v6, v7 op_sel:[0,1] op_sel_hi:[1,0] neg_lo:[0,1] neg_hi:[0,1]
	s_delay_alu instid0(VALU_DEP_4) | instskip(NEXT) | instid1(VALU_DEP_4)
	v_pk_add_f16 v6, v8, v7 op_sel:[0,1] op_sel_hi:[1,0] neg_lo:[0,1] neg_hi:[0,1]
	v_pk_add_f16 v3, v3, v7 op_sel:[0,1] op_sel_hi:[1,0] neg_lo:[0,1] neg_hi:[0,1]
	s_delay_alu instid0(VALU_DEP_3) | instskip(NEXT) | instid1(VALU_DEP_2)
	v_bfi_b32 v4, 0xffff, v4, v5
	v_bfi_b32 v3, 0xffff, v6, v3
	ds_store_b32 v41, v4 offset:6720
	ds_store_b32 v2, v3 offset:7680
	s_waitcnt lgkmcnt(0)
	s_barrier
	buffer_gl0_inv
	s_and_saveexec_b32 s0, vcc_lo
	s_cbranch_execz .LBB0_20
; %bb.18:
	v_dual_mov_b32 v25, v23 :: v_dual_add_nc_u32 v2, 0x200, v41
	v_add_nc_u32_e32 v3, 0x600, v41
	v_add_nc_u32_e32 v10, 0xa00, v41
	ds_load_2addr_b32 v[4:5], v41 offset1:120
	ds_load_2addr_b32 v[6:7], v2 offset0:112 offset1:232
	ds_load_2addr_b32 v[8:9], v3 offset0:96 offset1:216
	;; [unrolled: 1-line block ×3, first 2 shown]
	v_add_co_u32 v2, vcc_lo, s8, v26
	v_add_co_ci_u32_e32 v3, vcc_lo, s9, v27, vcc_lo
	v_add_nc_u32_e32 v12, 0xe00, v41
	s_delay_alu instid0(VALU_DEP_3) | instskip(NEXT) | instid1(VALU_DEP_3)
	v_add_co_u32 v0, vcc_lo, v2, v0
	v_add_co_ci_u32_e32 v1, vcc_lo, v3, v1, vcc_lo
	ds_load_2addr_b32 v[12:13], v12 offset0:64 offset1:184
	v_add_nc_u32_e32 v14, 0x1c00, v41
	v_lshlrev_b64 v[16:17], 2, v[24:25]
	v_add_nc_u32_e32 v18, 0x2000, v41
	v_add_nc_u32_e32 v21, 0x2400, v41
	;; [unrolled: 1-line block ×6, first 2 shown]
	s_waitcnt lgkmcnt(4)
	s_clause 0x1
	global_store_b32 v[0:1], v4, off
	global_store_b32 v[0:1], v5, off offset:480
	s_waitcnt lgkmcnt(3)
	s_clause 0x1
	global_store_b32 v[0:1], v6, off offset:960
	global_store_b32 v[0:1], v7, off offset:1440
	s_waitcnt lgkmcnt(2)
	s_clause 0x1
	global_store_b32 v[0:1], v8, off offset:1920
	;; [unrolled: 4-line block ×3, first 2 shown]
	global_store_b32 v[0:1], v11, off offset:3360
	v_add_nc_u32_e32 v6, 0x1200, v41
	v_add_nc_u32_e32 v8, 0x1600, v41
	;; [unrolled: 1-line block ×3, first 2 shown]
	ds_load_2addr_b32 v[6:7], v6 offset0:48 offset1:168
	ds_load_2addr_b32 v[8:9], v8 offset0:32 offset1:152
	;; [unrolled: 1-line block ×4, first 2 shown]
	v_add_co_u32 v4, vcc_lo, 0x1000, v0
	v_add_co_ci_u32_e32 v5, vcc_lo, 0, v1, vcc_lo
	v_add_co_u32 v16, vcc_lo, v2, v16
	v_add_co_ci_u32_e32 v17, vcc_lo, v3, v17, vcc_lo
	ds_load_2addr_b32 v[18:19], v18 offset0:112 offset1:232
	ds_load_2addr_b32 v[21:22], v21 offset0:96 offset1:216
	;; [unrolled: 1-line block ×4, first 2 shown]
	s_waitcnt lgkmcnt(8)
	s_clause 0x1
	global_store_b32 v[0:1], v12, off offset:3840
	global_store_b32 v[4:5], v13, off offset:224
	s_waitcnt lgkmcnt(7)
	s_clause 0x1
	global_store_b32 v[4:5], v6, off offset:704
	global_store_b32 v[4:5], v7, off offset:1184
	;; [unrolled: 4-line block ×4, first 2 shown]
	s_waitcnt lgkmcnt(4)
	global_store_b32 v[16:17], v14, off
	ds_load_2addr_b32 v[6:7], v27 offset0:48 offset1:168
	ds_load_2addr_b32 v[8:9], v28 offset0:32 offset1:152
	v_add_co_u32 v10, vcc_lo, 0x2000, v0
	v_add_co_ci_u32_e32 v11, vcc_lo, 0, v1, vcc_lo
	v_add_co_u32 v0, vcc_lo, 0x3000, v0
	v_add_co_ci_u32_e32 v1, vcc_lo, 0, v1, vcc_lo
	v_cmp_eq_u32_e32 vcc_lo, 0x77, v20
	global_store_b32 v[4:5], v15, off offset:4064
	s_waitcnt lgkmcnt(5)
	s_clause 0x1
	global_store_b32 v[10:11], v18, off offset:448
	global_store_b32 v[10:11], v19, off offset:928
	s_waitcnt lgkmcnt(4)
	s_clause 0x1
	global_store_b32 v[10:11], v21, off offset:1408
	;; [unrolled: 4-line block ×6, first 2 shown]
	global_store_b32 v[0:1], v9, off offset:1632
	s_and_b32 exec_lo, exec_lo, vcc_lo
	s_cbranch_execz .LBB0_20
; %bb.19:
	v_mov_b32_e32 v0, 0
	ds_load_b32 v4, v0 offset:14400
	v_add_co_u32 v0, vcc_lo, 0x3000, v2
	v_add_co_ci_u32_e32 v1, vcc_lo, 0, v3, vcc_lo
	s_waitcnt lgkmcnt(0)
	global_store_b32 v[0:1], v4, off offset:2112
.LBB0_20:
	s_nop 0
	s_sendmsg sendmsg(MSG_DEALLOC_VGPRS)
	s_endpgm
	.section	.rodata,"a",@progbits
	.p2align	6, 0x0
	.amdhsa_kernel fft_rtc_fwd_len3600_factors_10_10_6_6_wgs_120_tpt_120_halfLds_half_ip_CI_unitstride_sbrr_R2C_dirReg
		.amdhsa_group_segment_fixed_size 0
		.amdhsa_private_segment_fixed_size 0
		.amdhsa_kernarg_size 88
		.amdhsa_user_sgpr_count 15
		.amdhsa_user_sgpr_dispatch_ptr 0
		.amdhsa_user_sgpr_queue_ptr 0
		.amdhsa_user_sgpr_kernarg_segment_ptr 1
		.amdhsa_user_sgpr_dispatch_id 0
		.amdhsa_user_sgpr_private_segment_size 0
		.amdhsa_wavefront_size32 1
		.amdhsa_uses_dynamic_stack 0
		.amdhsa_enable_private_segment 0
		.amdhsa_system_sgpr_workgroup_id_x 1
		.amdhsa_system_sgpr_workgroup_id_y 0
		.amdhsa_system_sgpr_workgroup_id_z 0
		.amdhsa_system_sgpr_workgroup_info 0
		.amdhsa_system_vgpr_workitem_id 0
		.amdhsa_next_free_vgpr 106
		.amdhsa_next_free_sgpr 21
		.amdhsa_reserve_vcc 1
		.amdhsa_float_round_mode_32 0
		.amdhsa_float_round_mode_16_64 0
		.amdhsa_float_denorm_mode_32 3
		.amdhsa_float_denorm_mode_16_64 3
		.amdhsa_dx10_clamp 1
		.amdhsa_ieee_mode 1
		.amdhsa_fp16_overflow 0
		.amdhsa_workgroup_processor_mode 1
		.amdhsa_memory_ordered 1
		.amdhsa_forward_progress 0
		.amdhsa_shared_vgpr_count 0
		.amdhsa_exception_fp_ieee_invalid_op 0
		.amdhsa_exception_fp_denorm_src 0
		.amdhsa_exception_fp_ieee_div_zero 0
		.amdhsa_exception_fp_ieee_overflow 0
		.amdhsa_exception_fp_ieee_underflow 0
		.amdhsa_exception_fp_ieee_inexact 0
		.amdhsa_exception_int_div_zero 0
	.end_amdhsa_kernel
	.text
.Lfunc_end0:
	.size	fft_rtc_fwd_len3600_factors_10_10_6_6_wgs_120_tpt_120_halfLds_half_ip_CI_unitstride_sbrr_R2C_dirReg, .Lfunc_end0-fft_rtc_fwd_len3600_factors_10_10_6_6_wgs_120_tpt_120_halfLds_half_ip_CI_unitstride_sbrr_R2C_dirReg
                                        ; -- End function
	.section	.AMDGPU.csdata,"",@progbits
; Kernel info:
; codeLenInByte = 20452
; NumSgprs: 23
; NumVgprs: 106
; ScratchSize: 0
; MemoryBound: 0
; FloatMode: 240
; IeeeMode: 1
; LDSByteSize: 0 bytes/workgroup (compile time only)
; SGPRBlocks: 2
; VGPRBlocks: 13
; NumSGPRsForWavesPerEU: 23
; NumVGPRsForWavesPerEU: 106
; Occupancy: 12
; WaveLimiterHint : 1
; COMPUTE_PGM_RSRC2:SCRATCH_EN: 0
; COMPUTE_PGM_RSRC2:USER_SGPR: 15
; COMPUTE_PGM_RSRC2:TRAP_HANDLER: 0
; COMPUTE_PGM_RSRC2:TGID_X_EN: 1
; COMPUTE_PGM_RSRC2:TGID_Y_EN: 0
; COMPUTE_PGM_RSRC2:TGID_Z_EN: 0
; COMPUTE_PGM_RSRC2:TIDIG_COMP_CNT: 0
	.text
	.p2alignl 7, 3214868480
	.fill 96, 4, 3214868480
	.type	__hip_cuid_3c86d38077f09bf4,@object ; @__hip_cuid_3c86d38077f09bf4
	.section	.bss,"aw",@nobits
	.globl	__hip_cuid_3c86d38077f09bf4
__hip_cuid_3c86d38077f09bf4:
	.byte	0                               ; 0x0
	.size	__hip_cuid_3c86d38077f09bf4, 1

	.ident	"AMD clang version 19.0.0git (https://github.com/RadeonOpenCompute/llvm-project roc-6.4.0 25133 c7fe45cf4b819c5991fe208aaa96edf142730f1d)"
	.section	".note.GNU-stack","",@progbits
	.addrsig
	.addrsig_sym __hip_cuid_3c86d38077f09bf4
	.amdgpu_metadata
---
amdhsa.kernels:
  - .args:
      - .actual_access:  read_only
        .address_space:  global
        .offset:         0
        .size:           8
        .value_kind:     global_buffer
      - .offset:         8
        .size:           8
        .value_kind:     by_value
      - .actual_access:  read_only
        .address_space:  global
        .offset:         16
        .size:           8
        .value_kind:     global_buffer
      - .actual_access:  read_only
        .address_space:  global
        .offset:         24
        .size:           8
        .value_kind:     global_buffer
      - .offset:         32
        .size:           8
        .value_kind:     by_value
      - .actual_access:  read_only
        .address_space:  global
        .offset:         40
        .size:           8
        .value_kind:     global_buffer
      - .actual_access:  read_only
        .address_space:  global
        .offset:         48
        .size:           8
        .value_kind:     global_buffer
      - .offset:         56
        .size:           4
        .value_kind:     by_value
      - .actual_access:  read_only
        .address_space:  global
        .offset:         64
        .size:           8
        .value_kind:     global_buffer
      - .actual_access:  read_only
        .address_space:  global
        .offset:         72
        .size:           8
        .value_kind:     global_buffer
      - .address_space:  global
        .offset:         80
        .size:           8
        .value_kind:     global_buffer
    .group_segment_fixed_size: 0
    .kernarg_segment_align: 8
    .kernarg_segment_size: 88
    .language:       OpenCL C
    .language_version:
      - 2
      - 0
    .max_flat_workgroup_size: 120
    .name:           fft_rtc_fwd_len3600_factors_10_10_6_6_wgs_120_tpt_120_halfLds_half_ip_CI_unitstride_sbrr_R2C_dirReg
    .private_segment_fixed_size: 0
    .sgpr_count:     23
    .sgpr_spill_count: 0
    .symbol:         fft_rtc_fwd_len3600_factors_10_10_6_6_wgs_120_tpt_120_halfLds_half_ip_CI_unitstride_sbrr_R2C_dirReg.kd
    .uniform_work_group_size: 1
    .uses_dynamic_stack: false
    .vgpr_count:     106
    .vgpr_spill_count: 0
    .wavefront_size: 32
    .workgroup_processor_mode: 1
amdhsa.target:   amdgcn-amd-amdhsa--gfx1100
amdhsa.version:
  - 1
  - 2
...

	.end_amdgpu_metadata
